;; amdgpu-corpus repo=ROCm/rocFFT kind=compiled arch=gfx1201 opt=O3
	.text
	.amdgcn_target "amdgcn-amd-amdhsa--gfx1201"
	.amdhsa_code_object_version 6
	.protected	fft_rtc_back_len1176_factors_2_2_2_3_7_7_wgs_56_tpt_56_halfLds_sp_op_CI_CI_unitstride_sbrr_R2C_dirReg ; -- Begin function fft_rtc_back_len1176_factors_2_2_2_3_7_7_wgs_56_tpt_56_halfLds_sp_op_CI_CI_unitstride_sbrr_R2C_dirReg
	.globl	fft_rtc_back_len1176_factors_2_2_2_3_7_7_wgs_56_tpt_56_halfLds_sp_op_CI_CI_unitstride_sbrr_R2C_dirReg
	.p2align	8
	.type	fft_rtc_back_len1176_factors_2_2_2_3_7_7_wgs_56_tpt_56_halfLds_sp_op_CI_CI_unitstride_sbrr_R2C_dirReg,@function
fft_rtc_back_len1176_factors_2_2_2_3_7_7_wgs_56_tpt_56_halfLds_sp_op_CI_CI_unitstride_sbrr_R2C_dirReg: ; @fft_rtc_back_len1176_factors_2_2_2_3_7_7_wgs_56_tpt_56_halfLds_sp_op_CI_CI_unitstride_sbrr_R2C_dirReg
; %bb.0:
	s_clause 0x2
	s_load_b128 s[8:11], s[0:1], 0x0
	s_load_b128 s[4:7], s[0:1], 0x58
	;; [unrolled: 1-line block ×3, first 2 shown]
	v_mul_u32_u24_e32 v1, 0x493, v0
	v_mov_b32_e32 v3, 0
	s_delay_alu instid0(VALU_DEP_2) | instskip(NEXT) | instid1(VALU_DEP_1)
	v_lshrrev_b32_e32 v1, 16, v1
	v_add_nc_u32_e32 v5, ttmp9, v1
	v_mov_b32_e32 v1, 0
	v_mov_b32_e32 v2, 0
	;; [unrolled: 1-line block ×3, first 2 shown]
	s_wait_kmcnt 0x0
	v_cmp_lt_u64_e64 s2, s[10:11], 2
	s_delay_alu instid0(VALU_DEP_1)
	s_and_b32 vcc_lo, exec_lo, s2
	s_cbranch_vccnz .LBB0_8
; %bb.1:
	s_load_b64 s[2:3], s[0:1], 0x10
	v_mov_b32_e32 v1, 0
	v_mov_b32_e32 v2, 0
	s_add_nc_u64 s[16:17], s[14:15], 8
	s_add_nc_u64 s[18:19], s[12:13], 8
	s_mov_b64 s[20:21], 1
	s_delay_alu instid0(VALU_DEP_1)
	v_dual_mov_b32 v37, v2 :: v_dual_mov_b32 v36, v1
	s_wait_kmcnt 0x0
	s_add_nc_u64 s[22:23], s[2:3], 8
	s_mov_b32 s3, 0
.LBB0_2:                                ; =>This Inner Loop Header: Depth=1
	s_load_b64 s[24:25], s[22:23], 0x0
                                        ; implicit-def: $vgpr40_vgpr41
	s_mov_b32 s2, exec_lo
	s_wait_kmcnt 0x0
	v_or_b32_e32 v4, s25, v6
	s_delay_alu instid0(VALU_DEP_1)
	v_cmpx_ne_u64_e32 0, v[3:4]
	s_wait_alu 0xfffe
	s_xor_b32 s26, exec_lo, s2
	s_cbranch_execz .LBB0_4
; %bb.3:                                ;   in Loop: Header=BB0_2 Depth=1
	s_cvt_f32_u32 s2, s24
	s_cvt_f32_u32 s27, s25
	s_sub_nc_u64 s[30:31], 0, s[24:25]
	s_wait_alu 0xfffe
	s_delay_alu instid0(SALU_CYCLE_1) | instskip(SKIP_1) | instid1(SALU_CYCLE_2)
	s_fmamk_f32 s2, s27, 0x4f800000, s2
	s_wait_alu 0xfffe
	v_s_rcp_f32 s2, s2
	s_delay_alu instid0(TRANS32_DEP_1) | instskip(SKIP_1) | instid1(SALU_CYCLE_2)
	s_mul_f32 s2, s2, 0x5f7ffffc
	s_wait_alu 0xfffe
	s_mul_f32 s27, s2, 0x2f800000
	s_wait_alu 0xfffe
	s_delay_alu instid0(SALU_CYCLE_2) | instskip(SKIP_1) | instid1(SALU_CYCLE_2)
	s_trunc_f32 s27, s27
	s_wait_alu 0xfffe
	s_fmamk_f32 s2, s27, 0xcf800000, s2
	s_cvt_u32_f32 s29, s27
	s_wait_alu 0xfffe
	s_delay_alu instid0(SALU_CYCLE_1) | instskip(SKIP_1) | instid1(SALU_CYCLE_2)
	s_cvt_u32_f32 s28, s2
	s_wait_alu 0xfffe
	s_mul_u64 s[34:35], s[30:31], s[28:29]
	s_wait_alu 0xfffe
	s_mul_hi_u32 s37, s28, s35
	s_mul_i32 s36, s28, s35
	s_mul_hi_u32 s2, s28, s34
	s_mul_i32 s33, s29, s34
	s_wait_alu 0xfffe
	s_add_nc_u64 s[36:37], s[2:3], s[36:37]
	s_mul_hi_u32 s27, s29, s34
	s_mul_hi_u32 s38, s29, s35
	s_add_co_u32 s2, s36, s33
	s_wait_alu 0xfffe
	s_add_co_ci_u32 s2, s37, s27
	s_mul_i32 s34, s29, s35
	s_add_co_ci_u32 s35, s38, 0
	s_wait_alu 0xfffe
	s_add_nc_u64 s[34:35], s[2:3], s[34:35]
	s_wait_alu 0xfffe
	v_add_co_u32 v4, s2, s28, s34
	s_delay_alu instid0(VALU_DEP_1) | instskip(SKIP_1) | instid1(VALU_DEP_1)
	s_cmp_lg_u32 s2, 0
	s_add_co_ci_u32 s29, s29, s35
	v_readfirstlane_b32 s28, v4
	s_wait_alu 0xfffe
	s_delay_alu instid0(VALU_DEP_1)
	s_mul_u64 s[30:31], s[30:31], s[28:29]
	s_wait_alu 0xfffe
	s_mul_hi_u32 s35, s28, s31
	s_mul_i32 s34, s28, s31
	s_mul_hi_u32 s2, s28, s30
	s_mul_i32 s33, s29, s30
	s_wait_alu 0xfffe
	s_add_nc_u64 s[34:35], s[2:3], s[34:35]
	s_mul_hi_u32 s27, s29, s30
	s_mul_hi_u32 s28, s29, s31
	s_wait_alu 0xfffe
	s_add_co_u32 s2, s34, s33
	s_add_co_ci_u32 s2, s35, s27
	s_mul_i32 s30, s29, s31
	s_add_co_ci_u32 s31, s28, 0
	s_wait_alu 0xfffe
	s_add_nc_u64 s[30:31], s[2:3], s[30:31]
	s_wait_alu 0xfffe
	v_add_co_u32 v4, s2, v4, s30
	s_delay_alu instid0(VALU_DEP_1) | instskip(SKIP_1) | instid1(VALU_DEP_1)
	s_cmp_lg_u32 s2, 0
	s_add_co_ci_u32 s2, s29, s31
	v_mul_hi_u32 v13, v5, v4
	s_wait_alu 0xfffe
	v_mad_co_u64_u32 v[7:8], null, v5, s2, 0
	v_mad_co_u64_u32 v[9:10], null, v6, v4, 0
	;; [unrolled: 1-line block ×3, first 2 shown]
	s_delay_alu instid0(VALU_DEP_3) | instskip(SKIP_1) | instid1(VALU_DEP_4)
	v_add_co_u32 v4, vcc_lo, v13, v7
	s_wait_alu 0xfffd
	v_add_co_ci_u32_e32 v7, vcc_lo, 0, v8, vcc_lo
	s_delay_alu instid0(VALU_DEP_2) | instskip(SKIP_1) | instid1(VALU_DEP_2)
	v_add_co_u32 v4, vcc_lo, v4, v9
	s_wait_alu 0xfffd
	v_add_co_ci_u32_e32 v4, vcc_lo, v7, v10, vcc_lo
	s_wait_alu 0xfffd
	v_add_co_ci_u32_e32 v7, vcc_lo, 0, v12, vcc_lo
	s_delay_alu instid0(VALU_DEP_2) | instskip(SKIP_1) | instid1(VALU_DEP_2)
	v_add_co_u32 v4, vcc_lo, v4, v11
	s_wait_alu 0xfffd
	v_add_co_ci_u32_e32 v9, vcc_lo, 0, v7, vcc_lo
	s_delay_alu instid0(VALU_DEP_2) | instskip(SKIP_1) | instid1(VALU_DEP_3)
	v_mul_lo_u32 v10, s25, v4
	v_mad_co_u64_u32 v[7:8], null, s24, v4, 0
	v_mul_lo_u32 v11, s24, v9
	s_delay_alu instid0(VALU_DEP_2) | instskip(NEXT) | instid1(VALU_DEP_2)
	v_sub_co_u32 v7, vcc_lo, v5, v7
	v_add3_u32 v8, v8, v11, v10
	s_delay_alu instid0(VALU_DEP_1) | instskip(SKIP_1) | instid1(VALU_DEP_1)
	v_sub_nc_u32_e32 v10, v6, v8
	s_wait_alu 0xfffd
	v_subrev_co_ci_u32_e64 v10, s2, s25, v10, vcc_lo
	v_add_co_u32 v11, s2, v4, 2
	s_wait_alu 0xf1ff
	v_add_co_ci_u32_e64 v12, s2, 0, v9, s2
	v_sub_co_u32 v13, s2, v7, s24
	v_sub_co_ci_u32_e32 v8, vcc_lo, v6, v8, vcc_lo
	s_wait_alu 0xf1ff
	v_subrev_co_ci_u32_e64 v10, s2, 0, v10, s2
	s_delay_alu instid0(VALU_DEP_3) | instskip(NEXT) | instid1(VALU_DEP_3)
	v_cmp_le_u32_e32 vcc_lo, s24, v13
	v_cmp_eq_u32_e64 s2, s25, v8
	s_wait_alu 0xfffd
	v_cndmask_b32_e64 v13, 0, -1, vcc_lo
	v_cmp_le_u32_e32 vcc_lo, s25, v10
	s_wait_alu 0xfffd
	v_cndmask_b32_e64 v14, 0, -1, vcc_lo
	v_cmp_le_u32_e32 vcc_lo, s24, v7
	;; [unrolled: 3-line block ×3, first 2 shown]
	s_wait_alu 0xfffd
	v_cndmask_b32_e64 v15, 0, -1, vcc_lo
	v_cmp_eq_u32_e32 vcc_lo, s25, v10
	s_wait_alu 0xf1ff
	s_delay_alu instid0(VALU_DEP_2)
	v_cndmask_b32_e64 v7, v15, v7, s2
	s_wait_alu 0xfffd
	v_cndmask_b32_e32 v10, v14, v13, vcc_lo
	v_add_co_u32 v13, vcc_lo, v4, 1
	s_wait_alu 0xfffd
	v_add_co_ci_u32_e32 v14, vcc_lo, 0, v9, vcc_lo
	s_delay_alu instid0(VALU_DEP_3) | instskip(SKIP_1) | instid1(VALU_DEP_2)
	v_cmp_ne_u32_e32 vcc_lo, 0, v10
	s_wait_alu 0xfffd
	v_cndmask_b32_e32 v8, v14, v12, vcc_lo
	v_cndmask_b32_e32 v10, v13, v11, vcc_lo
	v_cmp_ne_u32_e32 vcc_lo, 0, v7
	s_wait_alu 0xfffd
	s_delay_alu instid0(VALU_DEP_2)
	v_dual_cndmask_b32 v41, v9, v8 :: v_dual_cndmask_b32 v40, v4, v10
.LBB0_4:                                ;   in Loop: Header=BB0_2 Depth=1
	s_wait_alu 0xfffe
	s_and_not1_saveexec_b32 s2, s26
	s_cbranch_execz .LBB0_6
; %bb.5:                                ;   in Loop: Header=BB0_2 Depth=1
	v_cvt_f32_u32_e32 v4, s24
	s_sub_co_i32 s26, 0, s24
	v_mov_b32_e32 v41, v3
	s_delay_alu instid0(VALU_DEP_2) | instskip(NEXT) | instid1(TRANS32_DEP_1)
	v_rcp_iflag_f32_e32 v4, v4
	v_mul_f32_e32 v4, 0x4f7ffffe, v4
	s_delay_alu instid0(VALU_DEP_1) | instskip(SKIP_1) | instid1(VALU_DEP_1)
	v_cvt_u32_f32_e32 v4, v4
	s_wait_alu 0xfffe
	v_mul_lo_u32 v7, s26, v4
	s_delay_alu instid0(VALU_DEP_1) | instskip(NEXT) | instid1(VALU_DEP_1)
	v_mul_hi_u32 v7, v4, v7
	v_add_nc_u32_e32 v4, v4, v7
	s_delay_alu instid0(VALU_DEP_1) | instskip(NEXT) | instid1(VALU_DEP_1)
	v_mul_hi_u32 v4, v5, v4
	v_mul_lo_u32 v7, v4, s24
	v_add_nc_u32_e32 v8, 1, v4
	s_delay_alu instid0(VALU_DEP_2) | instskip(NEXT) | instid1(VALU_DEP_1)
	v_sub_nc_u32_e32 v7, v5, v7
	v_subrev_nc_u32_e32 v9, s24, v7
	v_cmp_le_u32_e32 vcc_lo, s24, v7
	s_wait_alu 0xfffd
	s_delay_alu instid0(VALU_DEP_2) | instskip(NEXT) | instid1(VALU_DEP_1)
	v_dual_cndmask_b32 v7, v7, v9 :: v_dual_cndmask_b32 v4, v4, v8
	v_cmp_le_u32_e32 vcc_lo, s24, v7
	s_delay_alu instid0(VALU_DEP_2) | instskip(SKIP_1) | instid1(VALU_DEP_1)
	v_add_nc_u32_e32 v8, 1, v4
	s_wait_alu 0xfffd
	v_cndmask_b32_e32 v40, v4, v8, vcc_lo
.LBB0_6:                                ;   in Loop: Header=BB0_2 Depth=1
	s_wait_alu 0xfffe
	s_or_b32 exec_lo, exec_lo, s2
	v_mul_lo_u32 v4, v41, s24
	s_delay_alu instid0(VALU_DEP_2)
	v_mul_lo_u32 v9, v40, s25
	s_load_b64 s[26:27], s[18:19], 0x0
	v_mad_co_u64_u32 v[7:8], null, v40, s24, 0
	s_load_b64 s[24:25], s[16:17], 0x0
	s_add_nc_u64 s[20:21], s[20:21], 1
	s_add_nc_u64 s[16:17], s[16:17], 8
	s_wait_alu 0xfffe
	v_cmp_ge_u64_e64 s2, s[20:21], s[10:11]
	s_add_nc_u64 s[18:19], s[18:19], 8
	s_add_nc_u64 s[22:23], s[22:23], 8
	v_add3_u32 v4, v8, v9, v4
	v_sub_co_u32 v5, vcc_lo, v5, v7
	s_wait_alu 0xfffd
	s_delay_alu instid0(VALU_DEP_2) | instskip(SKIP_2) | instid1(VALU_DEP_1)
	v_sub_co_ci_u32_e32 v4, vcc_lo, v6, v4, vcc_lo
	s_and_b32 vcc_lo, exec_lo, s2
	s_wait_kmcnt 0x0
	v_mul_lo_u32 v6, s26, v4
	v_mul_lo_u32 v7, s27, v5
	v_mad_co_u64_u32 v[1:2], null, s26, v5, v[1:2]
	v_mul_lo_u32 v4, s24, v4
	v_mul_lo_u32 v8, s25, v5
	v_mad_co_u64_u32 v[36:37], null, s24, v5, v[36:37]
	s_delay_alu instid0(VALU_DEP_4) | instskip(NEXT) | instid1(VALU_DEP_2)
	v_add3_u32 v2, v7, v2, v6
	v_add3_u32 v37, v8, v37, v4
	s_wait_alu 0xfffe
	s_cbranch_vccnz .LBB0_9
; %bb.7:                                ;   in Loop: Header=BB0_2 Depth=1
	v_dual_mov_b32 v5, v40 :: v_dual_mov_b32 v6, v41
	s_branch .LBB0_2
.LBB0_8:
	v_dual_mov_b32 v37, v2 :: v_dual_mov_b32 v36, v1
	v_dual_mov_b32 v41, v6 :: v_dual_mov_b32 v40, v5
.LBB0_9:
	s_load_b64 s[0:1], s[0:1], 0x28
	v_mul_hi_u32 v3, 0x4924925, v0
	s_lshl_b64 s[10:11], s[10:11], 3
                                        ; implicit-def: $vgpr38
                                        ; implicit-def: $vgpr42
                                        ; implicit-def: $vgpr52
                                        ; implicit-def: $vgpr51
                                        ; implicit-def: $vgpr50
                                        ; implicit-def: $vgpr49
                                        ; implicit-def: $vgpr48
                                        ; implicit-def: $vgpr47
                                        ; implicit-def: $vgpr46
                                        ; implicit-def: $vgpr45
                                        ; implicit-def: $vgpr44
	s_wait_kmcnt 0x0
	v_cmp_gt_u64_e32 vcc_lo, s[0:1], v[40:41]
	v_cmp_le_u64_e64 s0, s[0:1], v[40:41]
	s_delay_alu instid0(VALU_DEP_1)
	s_and_saveexec_b32 s1, s0
	s_wait_alu 0xfffe
	s_xor_b32 s0, exec_lo, s1
	s_cbranch_execz .LBB0_11
; %bb.10:
	v_mul_u32_u24_e32 v1, 56, v3
                                        ; implicit-def: $vgpr3
	s_delay_alu instid0(VALU_DEP_1) | instskip(NEXT) | instid1(VALU_DEP_1)
	v_sub_nc_u32_e32 v38, v0, v1
                                        ; implicit-def: $vgpr0
                                        ; implicit-def: $vgpr1_vgpr2
	v_add_nc_u32_e32 v42, 56, v38
	v_add_nc_u32_e32 v52, 0x70, v38
	v_add_nc_u32_e32 v51, 0xa8, v38
	v_add_nc_u32_e32 v50, 0xe0, v38
	v_add_nc_u32_e32 v49, 0x118, v38
	v_add_nc_u32_e32 v48, 0x150, v38
	v_add_nc_u32_e32 v47, 0x188, v38
	v_or_b32_e32 v46, 0x1c0, v38
	v_add_nc_u32_e32 v45, 0x1f8, v38
	v_add_nc_u32_e32 v44, 0x230, v38
.LBB0_11:
	s_wait_alu 0xfffe
	s_or_saveexec_b32 s1, s0
	s_add_nc_u64 s[2:3], s[14:15], s[10:11]
	s_wait_alu 0xfffe
	s_xor_b32 exec_lo, exec_lo, s1
	s_cbranch_execz .LBB0_13
; %bb.12:
	s_add_nc_u64 s[10:11], s[12:13], s[10:11]
	v_lshlrev_b64_e32 v[1:2], 3, v[1:2]
	s_load_b64 s[10:11], s[10:11], 0x0
	s_wait_kmcnt 0x0
	v_mul_lo_u32 v6, s11, v40
	v_mul_lo_u32 v7, s10, v41
	v_mad_co_u64_u32 v[4:5], null, s10, v40, 0
	s_delay_alu instid0(VALU_DEP_1) | instskip(SKIP_1) | instid1(VALU_DEP_2)
	v_add3_u32 v5, v5, v7, v6
	v_mul_u32_u24_e32 v6, 56, v3
	v_lshlrev_b64_e32 v[3:4], 3, v[4:5]
	s_delay_alu instid0(VALU_DEP_2) | instskip(NEXT) | instid1(VALU_DEP_1)
	v_sub_nc_u32_e32 v38, v0, v6
	v_lshlrev_b32_e32 v39, 3, v38
	s_delay_alu instid0(VALU_DEP_3) | instskip(SKIP_1) | instid1(VALU_DEP_4)
	v_add_co_u32 v0, s0, s4, v3
	s_wait_alu 0xf1ff
	v_add_co_ci_u32_e64 v3, s0, s5, v4, s0
	v_add_nc_u32_e32 v42, 56, v38
	s_delay_alu instid0(VALU_DEP_3) | instskip(SKIP_1) | instid1(VALU_DEP_3)
	v_add_co_u32 v0, s0, v0, v1
	s_wait_alu 0xf1ff
	v_add_co_ci_u32_e64 v1, s0, v3, v2, s0
	v_add_nc_u32_e32 v52, 0x70, v38
	s_delay_alu instid0(VALU_DEP_3) | instskip(SKIP_1) | instid1(VALU_DEP_3)
	v_add_co_u32 v0, s0, v0, v39
	s_wait_alu 0xf1ff
	v_add_co_ci_u32_e64 v1, s0, 0, v1, s0
	s_clause 0x14
	global_load_b64 v[2:3], v[0:1], off
	global_load_b64 v[4:5], v[0:1], off offset:448
	global_load_b64 v[6:7], v[0:1], off offset:896
	global_load_b64 v[8:9], v[0:1], off offset:1344
	global_load_b64 v[10:11], v[0:1], off offset:1792
	global_load_b64 v[12:13], v[0:1], off offset:2240
	global_load_b64 v[14:15], v[0:1], off offset:2688
	global_load_b64 v[16:17], v[0:1], off offset:3136
	global_load_b64 v[18:19], v[0:1], off offset:3584
	global_load_b64 v[20:21], v[0:1], off offset:4032
	global_load_b64 v[22:23], v[0:1], off offset:4480
	global_load_b64 v[24:25], v[0:1], off offset:4928
	global_load_b64 v[26:27], v[0:1], off offset:5376
	global_load_b64 v[28:29], v[0:1], off offset:5824
	global_load_b64 v[30:31], v[0:1], off offset:6272
	global_load_b64 v[32:33], v[0:1], off offset:6720
	global_load_b64 v[34:35], v[0:1], off offset:7168
	global_load_b64 v[53:54], v[0:1], off offset:7616
	global_load_b64 v[55:56], v[0:1], off offset:8064
	global_load_b64 v[57:58], v[0:1], off offset:8512
	global_load_b64 v[0:1], v[0:1], off offset:8960
	v_add_nc_u32_e32 v39, 0, v39
	v_add_nc_u32_e32 v51, 0xa8, v38
	;; [unrolled: 1-line block ×6, first 2 shown]
	v_or_b32_e32 v46, 0x1c0, v38
	v_add_nc_u32_e32 v45, 0x1f8, v38
	v_add_nc_u32_e32 v44, 0x230, v38
	;; [unrolled: 1-line block ×7, first 2 shown]
	s_wait_loadcnt 0x13
	ds_store_2addr_b64 v39, v[2:3], v[4:5] offset1:56
	s_wait_loadcnt 0x11
	ds_store_2addr_b64 v39, v[6:7], v[8:9] offset0:112 offset1:168
	s_wait_loadcnt 0xf
	ds_store_2addr_b64 v43, v[10:11], v[12:13] offset0:96 offset1:152
	;; [unrolled: 2-line block ×9, first 2 shown]
	s_wait_loadcnt 0x0
	ds_store_b64 v39, v[0:1] offset:8960
.LBB0_13:
	s_or_b32 exec_lo, exec_lo, s1
	v_lshlrev_b32_e32 v39, 3, v38
	s_load_b64 s[2:3], s[2:3], 0x0
	global_wb scope:SCOPE_SE
	s_wait_dscnt 0x0
	s_wait_kmcnt 0x0
	s_barrier_signal -1
	s_barrier_wait -1
	v_add_nc_u32_e32 v64, 0, v39
	global_inv scope:SCOPE_SE
	v_lshl_add_u32 v61, v49, 4, 0
	v_lshl_add_u32 v62, v48, 4, 0
	;; [unrolled: 1-line block ×3, first 2 shown]
	v_add_nc_u32_e32 v4, 0x1000, v64
	v_cmp_gt_u32_e64 s0, 28, v38
	ds_load_2addr_b64 v[0:3], v64 offset1:56
	ds_load_2addr_b64 v[5:8], v4 offset0:48 offset1:76
	s_wait_dscnt 0x0
	v_sub_f32_e32 v7, v0, v7
	ds_load_2addr_b64 v[17:20], v4 offset0:132 offset1:188
	v_add_nc_u32_e32 v9, 0x1400, v64
	v_add_nc_u32_e32 v10, 0x400, v64
	ds_load_2addr_b64 v[21:24], v64 offset0:112 offset1:168
	ds_load_2addr_b64 v[25:28], v9 offset0:116 offset1:172
	;; [unrolled: 1-line block ×3, first 2 shown]
	v_add_nc_u32_e32 v12, 0x1800, v64
	v_add_nc_u32_e32 v9, 0x800, v64
	;; [unrolled: 1-line block ×4, first 2 shown]
	ds_load_2addr_b64 v[53:56], v12 offset0:100 offset1:156
	ds_load_2addr_b64 v[57:60], v9 offset0:80 offset1:136
	;; [unrolled: 1-line block ×5, first 2 shown]
	v_sub_f32_e32 v8, v1, v8
	v_fma_f32 v0, v0, 2.0, -v7
	global_wb scope:SCOPE_SE
	s_wait_dscnt 0x0
	s_barrier_signal -1
	s_barrier_wait -1
	v_fma_f32 v1, v1, 2.0, -v8
	global_inv scope:SCOPE_SE
	v_dual_sub_f32 v9, v2, v17 :: v_dual_sub_f32 v10, v3, v18
	v_dual_sub_f32 v14, v22, v20 :: v_dual_sub_f32 v17, v23, v25
	v_sub_f32_e32 v13, v21, v19
	v_dual_sub_f32 v25, v29, v27 :: v_dual_sub_f32 v54, v32, v54
	v_sub_f32_e32 v55, v57, v55
	s_delay_alu instid0(VALU_DEP_4)
	v_fma_f32 v34, v22, 2.0, -v14
	v_sub_f32_e32 v67, v69, v67
	v_sub_f32_e32 v22, v5, v75
	v_fma_f32 v27, v23, 2.0, -v17
	v_dual_sub_f32 v56, v58, v56 :: v_dual_sub_f32 v73, v71, v73
	v_dual_sub_f32 v66, v60, v66 :: v_dual_sub_f32 v23, v6, v76
	v_sub_f32_e32 v68, v70, v68
	v_fma_f32 v20, v5, 2.0, -v22
	v_add_nc_u32_e32 v5, v64, v39
	v_sub_f32_e32 v18, v24, v26
	v_dual_sub_f32 v26, v30, v28 :: v_dual_sub_f32 v65, v59, v65
	v_dual_sub_f32 v74, v72, v74 :: v_dual_sub_f32 v53, v31, v53
	v_fma_f32 v2, v2, 2.0, -v9
	v_fma_f32 v3, v3, 2.0, -v10
	;; [unrolled: 1-line block ×8, first 2 shown]
	ds_store_2addr_b64 v5, v[0:1], v[7:8] offset1:1
	v_lshl_add_u32 v0, v42, 4, 0
	v_lshl_add_u32 v69, v47, 4, 0
	;; [unrolled: 1-line block ×3, first 2 shown]
	v_fma_f32 v59, v59, 2.0, -v65
	v_fma_f32 v60, v60, 2.0, -v66
	v_lshl_add_u32 v1, v52, 4, 0
	v_fma_f32 v28, v24, 2.0, -v18
	v_lshl_add_u32 v5, v51, 4, 0
	v_fma_f32 v29, v29, 2.0, -v25
	v_fma_f32 v30, v30, 2.0, -v26
	v_fma_f32 v71, v71, 2.0, -v73
	v_fma_f32 v72, v72, 2.0, -v74
	v_lshl_add_u32 v6, v50, 4, 0
	v_fma_f32 v31, v31, 2.0, -v53
	v_fma_f32 v32, v32, 2.0, -v54
	ds_store_2addr_b64 v0, v[2:3], v[9:10] offset1:1
	ds_store_2addr_b64 v1, v[33:34], v[13:14] offset1:1
	;; [unrolled: 1-line block ×9, first 2 shown]
	s_and_saveexec_b32 s1, s0
	s_cbranch_execz .LBB0_15
; %bb.14:
	v_lshl_add_u32 v0, v44, 4, 0
	ds_store_2addr_b64 v0, v[20:21], v[22:23] offset1:1
.LBB0_15:
	s_wait_alu 0xfffe
	s_or_b32 exec_lo, exec_lo, s1
	v_lshlrev_b32_e32 v71, 3, v49
	v_lshlrev_b32_e32 v72, 3, v48
	;; [unrolled: 1-line block ×5, first 2 shown]
	v_lshl_add_u32 v65, v50, 3, 0
	v_lshl_add_u32 v68, v42, 3, 0
	v_sub_nc_u32_e32 v17, v61, v71
	v_lshl_add_u32 v67, v52, 3, 0
	v_sub_nc_u32_e32 v18, v62, v72
	;; [unrolled: 2-line block ×3, first 2 shown]
	v_sub_nc_u32_e32 v32, v70, v85
	v_sub_nc_u32_e32 v33, v83, v88
	global_wb scope:SCOPE_SE
	s_wait_dscnt 0x0
	s_barrier_signal -1
	s_barrier_wait -1
	global_inv scope:SCOPE_SE
	ds_load_2addr_b64 v[0:3], v4 offset0:76 offset1:132
	ds_load_2addr_b64 v[4:7], v4 offset0:188 offset1:244
	ds_load_b64 v[30:31], v64
	ds_load_b64 v[28:29], v68
	;; [unrolled: 1-line block ×4, first 2 shown]
	ds_load_2addr_b64 v[8:11], v12 offset0:44 offset1:100
	ds_load_2addr_b64 v[12:15], v12 offset0:156 offset1:212
	ds_load_b64 v[59:60], v65
	ds_load_b64 v[57:58], v17
	;; [unrolled: 1-line block ×4, first 2 shown]
	ds_load_2addr_b64 v[16:19], v16 offset0:12 offset1:68
	ds_load_b64 v[53:54], v32
	ds_load_b64 v[32:33], v33
	v_lshlrev_b32_e32 v81, 1, v42
	v_lshlrev_b32_e32 v80, 1, v52
	;; [unrolled: 1-line block ×9, first 2 shown]
	v_lshl_add_u32 v63, v44, 3, 0
	s_and_saveexec_b32 s1, s0
	s_cbranch_execz .LBB0_17
; %bb.16:
	ds_load_b64 v[20:21], v63
	ds_load_b64 v[22:23], v64 offset:9184
.LBB0_17:
	s_wait_alu 0xfffe
	s_or_b32 exec_lo, exec_lo, s1
	v_and_b32_e32 v87, 1, v38
	v_sub_nc_u32_e32 v86, 0, v85
	v_sub_nc_u32_e32 v85, 0, v88
	;; [unrolled: 1-line block ×3, first 2 shown]
	s_delay_alu instid0(VALU_DEP_4)
	v_lshlrev_b32_e32 v73, 3, v87
	global_load_b64 v[89:90], v73, s[8:9]
	v_lshlrev_b32_e32 v84, 1, v38
	v_sub_nc_u32_e32 v73, 0, v71
	v_sub_nc_u32_e32 v71, 0, v82
	v_lshlrev_b32_e32 v82, 1, v44
	global_wb scope:SCOPE_SE
	s_wait_loadcnt_dscnt 0x0
	s_barrier_signal -1
	s_barrier_wait -1
	global_inv scope:SCOPE_SE
	v_mul_f32_e32 v103, v90, v2
	v_mul_f32_e32 v101, v90, v0
	;; [unrolled: 1-line block ×3, first 2 shown]
	v_dual_mul_f32 v105, v90, v4 :: v_dual_mul_f32 v120, v23, v90
	v_mul_f32_e32 v107, v90, v6
	s_delay_alu instid0(VALU_DEP_4) | instskip(NEXT) | instid1(VALU_DEP_4)
	v_fma_f32 v1, v89, v1, -v101
	v_fmac_f32_e32 v100, v89, v0
	v_mul_f32_e32 v102, v90, v3
	v_mul_f32_e32 v104, v90, v5
	v_fma_f32 v3, v89, v3, -v103
	v_sub_f32_e32 v1, v31, v1
	s_delay_alu instid0(VALU_DEP_4)
	v_dual_mul_f32 v109, v90, v8 :: v_dual_fmac_f32 v102, v89, v2
	v_fma_f32 v5, v89, v5, -v105
	v_mul_f32_e32 v106, v90, v7
	v_fma_f32 v7, v89, v7, -v107
	v_dual_mul_f32 v108, v90, v9 :: v_dual_sub_f32 v3, v29, v3
	v_mul_f32_e32 v112, v90, v13
	v_mul_f32_e32 v115, v90, v14
	v_fma_f32 v9, v89, v9, -v109
	s_delay_alu instid0(VALU_DEP_4)
	v_dual_fmac_f32 v108, v89, v8 :: v_dual_sub_f32 v5, v27, v5
	v_dual_mul_f32 v113, v90, v12 :: v_dual_fmac_f32 v106, v89, v6
	v_sub_f32_e32 v7, v25, v7
	v_dual_mul_f32 v119, v90, v18 :: v_dual_fmac_f32 v112, v89, v12
	v_dual_mul_f32 v110, v90, v11 :: v_dual_sub_f32 v9, v60, v9
	v_dual_mul_f32 v111, v90, v10 :: v_dual_fmac_f32 v104, v89, v4
	s_delay_alu instid0(VALU_DEP_2)
	v_dual_mul_f32 v117, v90, v16 :: v_dual_fmac_f32 v110, v89, v10
	v_mul_f32_e32 v118, v90, v19
	v_fma_f32 v13, v89, v13, -v113
	v_mul_f32_e32 v114, v90, v15
	v_fma_f32 v15, v89, v15, -v115
	;; [unrolled: 2-line block ×3, first 2 shown]
	v_mul_f32_e32 v90, v22, v90
	v_and_or_b32 v88, 0x7c, v84, v87
	v_fma_f32 v11, v89, v11, -v111
	v_fma_f32 v17, v89, v17, -v117
	v_sub_f32_e32 v19, v33, v19
	v_fma_f32 v23, v23, v89, -v90
	v_fmac_f32_e32 v120, v22, v89
	v_fmac_f32_e32 v118, v89, v18
	v_dual_sub_f32 v0, v30, v100 :: v_dual_sub_f32 v13, v56, v13
	s_delay_alu instid0(VALU_DEP_4)
	v_sub_f32_e32 v23, v21, v23
	v_dual_fmac_f32 v114, v89, v14 :: v_dual_sub_f32 v11, v58, v11
	v_dual_sub_f32 v15, v35, v15 :: v_dual_fmac_f32 v116, v89, v16
	v_dual_sub_f32 v17, v54, v17 :: v_dual_sub_f32 v22, v20, v120
	v_and_or_b32 v91, 0xfc, v81, v87
	v_sub_f32_e32 v2, v28, v102
	v_and_or_b32 v92, 0x1fc, v80, v87
	v_sub_f32_e32 v4, v26, v104
	;; [unrolled: 2-line block ×4, first 2 shown]
	v_and_or_b32 v95, 0x2fc, v77, v87
	v_and_or_b32 v96, 0x3fc, v76, v87
	;; [unrolled: 1-line block ×5, first 2 shown]
	v_lshl_add_u32 v88, v88, 3, 0
	v_sub_f32_e32 v10, v57, v110
	v_sub_f32_e32 v12, v55, v112
	;; [unrolled: 1-line block ×5, first 2 shown]
	v_fma_f32 v30, v30, 2.0, -v0
	v_fma_f32 v31, v31, 2.0, -v1
	;; [unrolled: 1-line block ×4, first 2 shown]
	v_lshl_add_u32 v91, v91, 3, 0
	v_fma_f32 v28, v28, 2.0, -v2
	v_fma_f32 v29, v29, 2.0, -v3
	v_lshl_add_u32 v92, v92, 3, 0
	v_fma_f32 v26, v26, 2.0, -v4
	v_fma_f32 v27, v27, 2.0, -v5
	;; [unrolled: 3-line block ×4, first 2 shown]
	v_lshl_add_u32 v95, v95, 3, 0
	v_lshl_add_u32 v96, v96, 3, 0
	;; [unrolled: 1-line block ×5, first 2 shown]
	v_fma_f32 v57, v57, 2.0, -v10
	v_fma_f32 v58, v58, 2.0, -v11
	;; [unrolled: 1-line block ×10, first 2 shown]
	ds_store_2addr_b64 v88, v[30:31], v[0:1] offset1:2
	ds_store_2addr_b64 v91, v[28:29], v[2:3] offset1:2
	;; [unrolled: 1-line block ×10, first 2 shown]
	s_and_saveexec_b32 s1, s0
	s_cbranch_execz .LBB0_19
; %bb.18:
	v_and_or_b32 v0, 0x4fc, v82, v87
	s_delay_alu instid0(VALU_DEP_1)
	v_lshl_add_u32 v0, v0, 3, 0
	ds_store_2addr_b64 v0, v[20:21], v[22:23] offset1:2
.LBB0_19:
	s_wait_alu 0xfffe
	s_or_b32 exec_lo, exec_lo, s1
	v_add_nc_u32_e32 v4, 0x1000, v64
	v_add_nc_u32_e32 v12, 0x1800, v64
	;; [unrolled: 1-line block ×6, first 2 shown]
	global_wb scope:SCOPE_SE
	s_wait_dscnt 0x0
	s_barrier_signal -1
	s_barrier_wait -1
	global_inv scope:SCOPE_SE
	ds_load_2addr_b64 v[0:3], v4 offset0:76 offset1:132
	ds_load_2addr_b64 v[4:7], v4 offset0:188 offset1:244
	ds_load_b64 v[30:31], v64
	ds_load_b64 v[28:29], v68
	;; [unrolled: 1-line block ×4, first 2 shown]
	ds_load_2addr_b64 v[8:11], v12 offset0:44 offset1:100
	ds_load_2addr_b64 v[12:15], v12 offset0:156 offset1:212
	v_add_nc_u32_e32 v70, v70, v86
	v_add_nc_u32_e32 v69, v83, v85
	ds_load_b64 v[61:62], v65
	ds_load_b64 v[59:60], v73
	;; [unrolled: 1-line block ×4, first 2 shown]
	ds_load_2addr_b64 v[16:19], v16 offset0:12 offset1:68
	ds_load_b64 v[53:54], v70
	ds_load_b64 v[32:33], v69
	s_and_saveexec_b32 s1, s0
	s_cbranch_execz .LBB0_21
; %bb.20:
	ds_load_b64 v[20:21], v63
	ds_load_b64 v[22:23], v64 offset:9184
.LBB0_21:
	s_wait_alu 0xfffe
	s_or_b32 exec_lo, exec_lo, s1
	v_and_b32_e32 v83, 3, v38
	s_delay_alu instid0(VALU_DEP_1)
	v_lshlrev_b32_e32 v55, 3, v83
	global_load_b64 v[55:56], v55, s[8:9] offset:16
	global_wb scope:SCOPE_SE
	s_wait_loadcnt_dscnt 0x0
	s_barrier_signal -1
	s_barrier_wait -1
	global_inv scope:SCOPE_SE
	v_mul_f32_e32 v88, v56, v2
	v_mul_f32_e32 v93, v56, v9
	;; [unrolled: 1-line block ×6, first 2 shown]
	v_fmac_f32_e32 v93, v55, v8
	v_fmac_f32_e32 v97, v55, v12
	v_mul_f32_e32 v95, v56, v11
	v_mul_f32_e32 v99, v56, v15
	;; [unrolled: 1-line block ×4, first 2 shown]
	s_delay_alu instid0(VALU_DEP_4)
	v_dual_sub_f32 v12, v57, v97 :: v_dual_fmac_f32 v95, v55, v10
	v_mul_f32_e32 v85, v56, v1
	v_dual_mul_f32 v102, v56, v16 :: v_dual_fmac_f32 v99, v55, v14
	v_mul_f32_e32 v89, v56, v5
	v_fma_f32 v1, v55, v1, -v86
	v_and_or_b32 v84, 0x78, v84, v83
	v_fma_f32 v13, v55, v13, -v98
	v_sub_f32_e32 v14, v34, v99
	v_dual_mul_f32 v96, v56, v10 :: v_dual_fmac_f32 v89, v55, v4
	v_sub_f32_e32 v10, v59, v95
	v_dual_mul_f32 v92, v56, v6 :: v_dual_fmac_f32 v85, v55, v0
	v_mul_f32_e32 v87, v56, v3
	v_mul_f32_e32 v91, v56, v7
	v_fma_f32 v3, v55, v3, -v88
	s_delay_alu instid0(VALU_DEP_4) | instskip(SKIP_4) | instid1(VALU_DEP_3)
	v_fma_f32 v7, v55, v7, -v92
	v_sub_f32_e32 v0, v30, v85
	v_dual_mul_f32 v90, v56, v4 :: v_dual_fmac_f32 v87, v55, v2
	v_sub_f32_e32 v4, v26, v89
	v_dual_mul_f32 v94, v56, v8 :: v_dual_fmac_f32 v91, v55, v6
	v_dual_fmac_f32 v101, v55, v16 :: v_dual_sub_f32 v2, v28, v87
	v_mul_f32_e32 v103, v56, v19
	v_fma_f32 v5, v55, v5, -v90
	s_delay_alu instid0(VALU_DEP_4) | instskip(NEXT) | instid1(VALU_DEP_4)
	v_fma_f32 v9, v55, v9, -v94
	v_sub_f32_e32 v16, v53, v101
	v_fma_f32 v11, v55, v11, -v96
	v_fma_f32 v15, v55, v15, -v100
	;; [unrolled: 1-line block ×3, first 2 shown]
	v_dual_fmac_f32 v103, v55, v18 :: v_dual_sub_f32 v6, v24, v91
	v_fma_f32 v19, v55, v19, -v104
	v_sub_f32_e32 v1, v31, v1
	v_and_or_b32 v81, 0xf8, v81, v83
	s_delay_alu instid0(VALU_DEP_4)
	v_sub_f32_e32 v18, v32, v103
	v_sub_f32_e32 v3, v29, v3
	v_and_or_b32 v80, 0x1f8, v80, v83
	v_sub_f32_e32 v5, v27, v5
	v_and_or_b32 v79, 0x1f8, v79, v83
	;; [unrolled: 2-line block ×3, first 2 shown]
	v_sub_f32_e32 v8, v61, v93
	v_sub_f32_e32 v9, v62, v9
	v_and_or_b32 v77, 0x2f8, v77, v83
	v_and_or_b32 v76, 0x3f8, v76, v83
	;; [unrolled: 1-line block ×5, first 2 shown]
	v_lshl_add_u32 v84, v84, 3, 0
	v_sub_f32_e32 v11, v60, v11
	v_sub_f32_e32 v13, v58, v13
	;; [unrolled: 1-line block ×5, first 2 shown]
	v_fma_f32 v30, v30, 2.0, -v0
	v_fma_f32 v31, v31, 2.0, -v1
	v_lshl_add_u32 v81, v81, 3, 0
	v_fma_f32 v28, v28, 2.0, -v2
	v_fma_f32 v29, v29, 2.0, -v3
	v_lshl_add_u32 v80, v80, 3, 0
	;; [unrolled: 3-line block ×5, first 2 shown]
	v_lshl_add_u32 v76, v76, 3, 0
	v_lshl_add_u32 v75, v75, 3, 0
	;; [unrolled: 1-line block ×4, first 2 shown]
	v_fma_f32 v59, v59, 2.0, -v10
	v_fma_f32 v60, v60, 2.0, -v11
	;; [unrolled: 1-line block ×10, first 2 shown]
	ds_store_2addr_b64 v84, v[30:31], v[0:1] offset1:4
	ds_store_2addr_b64 v81, v[28:29], v[2:3] offset1:4
	;; [unrolled: 1-line block ×10, first 2 shown]
	s_and_saveexec_b32 s1, s0
	s_cbranch_execz .LBB0_23
; %bb.22:
	v_mul_f32_e32 v0, v22, v56
	v_mul_f32_e32 v2, v23, v56
	v_and_or_b32 v4, 0x4f8, v82, v83
	s_delay_alu instid0(VALU_DEP_3) | instskip(NEXT) | instid1(VALU_DEP_3)
	v_fma_f32 v0, v23, v55, -v0
	v_fmac_f32_e32 v2, v22, v55
	s_delay_alu instid0(VALU_DEP_3) | instskip(NEXT) | instid1(VALU_DEP_2)
	v_lshl_add_u32 v4, v4, 3, 0
	v_dual_sub_f32 v1, v21, v0 :: v_dual_sub_f32 v0, v20, v2
	s_delay_alu instid0(VALU_DEP_1) | instskip(NEXT) | instid1(VALU_DEP_2)
	v_fma_f32 v3, v21, 2.0, -v1
	v_fma_f32 v2, v20, 2.0, -v0
	ds_store_2addr_b64 v4, v[2:3], v[0:1] offset1:4
.LBB0_23:
	s_wait_alu 0xfffe
	s_or_b32 exec_lo, exec_lo, s1
	v_and_b32_e32 v22, 7, v38
	global_wb scope:SCOPE_SE
	s_wait_dscnt 0x0
	s_barrier_signal -1
	s_barrier_wait -1
	global_inv scope:SCOPE_SE
	v_lshlrev_b32_e32 v0, 4, v22
	v_lshrrev_b32_e32 v53, 3, v42
	v_lshrrev_b32_e32 v54, 3, v52
	;; [unrolled: 1-line block ×4, first 2 shown]
	global_load_b128 v[4:7], v0, s[8:9] offset:48
	ds_load_2addr_stride64_b64 v[0:3], v64 offset1:7
	ds_load_b64 v[18:19], v68
	ds_load_b64 v[16:17], v67
	;; [unrolled: 1-line block ×7, first 2 shown]
	v_lshrrev_b32_e32 v61, 3, v49
	v_lshrrev_b32_e32 v62, 3, v48
	;; [unrolled: 1-line block ×3, first 2 shown]
	v_mul_lo_u32 v53, v53, 24
	v_mul_lo_u32 v54, v54, 24
	;; [unrolled: 1-line block ×6, first 2 shown]
	v_mul_u32_u24_e32 v35, 24, v35
	v_add_nc_u32_e32 v43, 0x1400, v64
	v_or_b32_e32 v53, v53, v22
	v_or_b32_e32 v54, v54, v22
	;; [unrolled: 1-line block ×7, first 2 shown]
	v_add_nc_u32_e32 v56, 0x1800, v64
	v_add_nc_u32_e32 v55, 0xc00, v64
	v_add_nc_u32_e32 v58, 0x1000, v64
	v_add_nc_u32_e32 v57, 0x2000, v64
	v_lshl_add_u32 v94, v22, 3, 0
	v_lshl_add_u32 v62, v35, 3, 0
	;; [unrolled: 1-line block ×7, first 2 shown]
	s_mov_b32 s4, exec_lo
	s_wait_loadcnt_dscnt 0x7
	v_mul_f32_e32 v96, v5, v3
	s_wait_dscnt 0x1
	v_mul_f32_e32 v22, v5, v21
	v_mul_f32_e32 v97, v5, v2
	ds_load_2addr_b64 v[23:26], v43 offset0:88 offset1:144
	ds_load_2addr_b64 v[27:30], v56 offset0:72 offset1:128
	;; [unrolled: 1-line block ×6, first 2 shown]
	v_and_b32_e32 v74, 0xff, v38
	v_and_b32_e32 v75, 0xff, v42
	;; [unrolled: 1-line block ×3, first 2 shown]
	global_wb scope:SCOPE_SE
	s_wait_dscnt 0x0
	s_barrier_signal -1
	s_barrier_wait -1
	global_inv scope:SCOPE_SE
	v_dual_mul_f32 v54, v7, v25 :: v_dual_mul_f32 v103, v29, v7
	v_mul_f32_e32 v101, v31, v5
	v_mul_lo_u16 v74, 0xab, v74
	v_mul_lo_u16 v89, 0xab, v76
	v_mul_f32_e32 v98, v7, v28
	v_mul_lo_u16 v75, 0xab, v75
	v_mul_f32_e32 v99, v7, v27
	v_lshrrev_b16 v74, 12, v74
	v_dual_mul_f32 v104, v34, v5 :: v_dual_mul_f32 v107, v77, v7
	s_delay_alu instid0(VALU_DEP_4) | instskip(SKIP_1) | instid1(VALU_DEP_4)
	v_lshrrev_b16 v76, 12, v75
	v_lshrrev_b16 v75, 12, v89
	v_mul_lo_u16 v89, v74, 24
	v_dual_mul_f32 v106, v78, v7 :: v_dual_mul_f32 v109, v81, v5
	s_delay_alu instid0(VALU_DEP_4) | instskip(SKIP_1) | instid1(VALU_DEP_4)
	v_mul_lo_u16 v35, v76, 24
	v_dual_mul_f32 v108, v82, v5 :: v_dual_mul_f32 v111, v79, v7
	v_sub_nc_u16 v60, v38, v89
	v_mul_f32_e32 v105, v33, v5
	s_delay_alu instid0(VALU_DEP_4) | instskip(SKIP_3) | instid1(VALU_DEP_4)
	v_sub_nc_u16 v35, v42, v35
	v_mul_f32_e32 v100, v32, v5
	v_dual_mul_f32 v110, v80, v7 :: v_dual_mul_f32 v113, v83, v5
	v_and_b32_e32 v60, 0xff, v60
	v_and_b32_e32 v61, 0xff, v35
	v_dual_mul_f32 v35, v5, v20 :: v_dual_mul_f32 v112, v84, v5
	v_mul_f32_e32 v115, v85, v7
	s_delay_alu instid0(VALU_DEP_4)
	v_mul_u32_u24_e32 v53, 6, v60
	v_mul_f32_e32 v102, v30, v7
	v_mul_f32_e32 v114, v86, v7
	;; [unrolled: 1-line block ×4, first 2 shown]
	v_lshlrev_b32_e32 v95, 3, v53
	v_mul_f32_e32 v53, v7, v26
	v_dual_mul_f32 v117, v88, v7 :: v_dual_fmac_f32 v100, v31, v4
	v_dual_mul_f32 v7, v87, v7 :: v_dual_fmac_f32 v22, v4, v20
	s_delay_alu instid0(VALU_DEP_3)
	v_fmac_f32_e32 v53, v6, v25
	v_fma_f32 v20, v4, v21, -v35
	v_fma_f32 v21, v6, v26, -v54
	v_fmac_f32_e32 v96, v4, v2
	v_dual_fmac_f32 v98, v6, v27 :: v_dual_fmac_f32 v117, v87, v6
	v_fma_f32 v2, v4, v3, -v97
	v_fma_f32 v25, v6, v28, -v99
	;; [unrolled: 1-line block ×3, first 2 shown]
	v_dual_fmac_f32 v102, v29, v6 :: v_dual_sub_f32 v35, v22, v53
	v_fma_f32 v26, v30, v6, -v103
	v_fmac_f32_e32 v104, v33, v4
	v_fma_f32 v27, v34, v4, -v105
	v_dual_fmac_f32 v106, v77, v6 :: v_dual_add_f32 v77, v2, v25
	v_fma_f32 v28, v78, v6, -v107
	v_fma_f32 v29, v82, v4, -v109
	v_dual_fmac_f32 v110, v79, v6 :: v_dual_add_f32 v79, v16, v100
	v_fma_f32 v30, v80, v6, -v111
	v_fma_f32 v31, v84, v4, -v113
	;; [unrolled: 1-line block ×3, first 2 shown]
	v_fmac_f32_e32 v116, v23, v4
	v_fma_f32 v33, v88, v6, -v7
	v_dual_sub_f32 v34, v20, v21 :: v_dual_add_f32 v7, v1, v20
	v_dual_fmac_f32 v108, v81, v4 :: v_dual_add_f32 v23, v96, v98
	v_fmac_f32_e32 v112, v83, v4
	v_fma_f32 v4, v24, v4, -v5
	v_add_f32_e32 v5, v0, v22
	s_delay_alu instid0(VALU_DEP_4)
	v_add_f32_e32 v99, v108, v110
	v_dual_fmac_f32 v114, v85, v6 :: v_dual_add_f32 v85, v14, v104
	v_dual_add_f32 v6, v22, v53 :: v_dual_sub_f32 v81, v3, v26
	v_dual_add_f32 v20, v20, v21 :: v_dual_sub_f32 v87, v27, v28
	v_add_f32_e32 v80, v100, v102
	v_dual_add_f32 v83, v3, v26 :: v_dual_add_f32 v22, v18, v96
	v_add_f32_e32 v101, v11, v29
	v_sub_f32_e32 v54, v2, v25
	v_dual_add_f32 v24, v19, v2 :: v_dual_add_f32 v97, v10, v108
	v_dual_sub_f32 v78, v96, v98 :: v_dual_sub_f32 v107, v31, v32
	v_dual_add_f32 v82, v17, v3 :: v_dual_sub_f32 v103, v108, v110
	v_dual_sub_f32 v84, v100, v102 :: v_dual_add_f32 v115, v13, v4
	v_dual_add_f32 v86, v104, v106 :: v_dual_add_f32 v3, v7, v21
	v_dual_add_f32 v88, v15, v27 :: v_dual_add_f32 v105, v112, v114
	v_dual_add_f32 v27, v27, v28 :: v_dual_sub_f32 v96, v104, v106
	v_dual_fmac_f32 v19, -0.5, v77 :: v_dual_sub_f32 v100, v29, v30
	v_add_f32_e32 v29, v29, v30
	v_add_f32_e32 v111, v12, v116
	v_dual_add_f32 v104, v8, v112 :: v_dual_add_f32 v7, v82, v26
	v_dual_add_f32 v108, v9, v31 :: v_dual_sub_f32 v109, v112, v114
	v_dual_add_f32 v31, v31, v32 :: v_dual_add_f32 v112, v116, v117
	v_dual_fmac_f32 v17, -0.5, v83 :: v_dual_add_f32 v118, v4, v33
	v_fmac_f32_e32 v15, -0.5, v27
	v_fma_f32 v0, -0.5, v6, v0
	v_fma_f32 v1, -0.5, v20, v1
	;; [unrolled: 1-line block ×4, first 2 shown]
	v_dual_sub_f32 v113, v4, v33 :: v_dual_add_f32 v4, v22, v98
	v_dual_sub_f32 v116, v116, v117 :: v_dual_add_f32 v23, v101, v30
	v_dual_add_f32 v2, v5, v53 :: v_dual_add_f32 v21, v88, v28
	v_dual_add_f32 v5, v24, v25 :: v_dual_add_f32 v6, v79, v102
	v_dual_add_f32 v20, v85, v106 :: v_dual_fmac_f32 v11, -0.5, v29
	v_fma_f32 v14, -0.5, v86, v14
	v_fma_f32 v10, -0.5, v99, v10
	v_dual_add_f32 v24, v104, v114 :: v_dual_fmac_f32 v9, -0.5, v31
	v_fma_f32 v8, -0.5, v105, v8
	v_dual_add_f32 v26, v111, v117 :: v_dual_fmac_f32 v13, -0.5, v118
	v_fma_f32 v12, -0.5, v112, v12
	v_dual_add_f32 v27, v115, v33 :: v_dual_fmamk_f32 v28, v34, 0xbf5db3d7, v0
	v_dual_fmac_f32 v0, 0x3f5db3d7, v34 :: v_dual_fmamk_f32 v29, v35, 0x3f5db3d7, v1
	v_dual_fmac_f32 v1, 0xbf5db3d7, v35 :: v_dual_fmamk_f32 v30, v54, 0xbf5db3d7, v18
	v_dual_fmac_f32 v18, 0x3f5db3d7, v54 :: v_dual_fmamk_f32 v31, v78, 0x3f5db3d7, v19
	v_fmac_f32_e32 v19, 0xbf5db3d7, v78
	v_dual_add_f32 v22, v97, v110 :: v_dual_add_f32 v25, v108, v32
	v_fmamk_f32 v32, v81, 0xbf5db3d7, v16
	v_dual_fmac_f32 v16, 0x3f5db3d7, v81 :: v_dual_fmamk_f32 v33, v84, 0x3f5db3d7, v17
	v_dual_fmac_f32 v17, 0xbf5db3d7, v84 :: v_dual_fmamk_f32 v34, v87, 0xbf5db3d7, v14
	;; [unrolled: 1-line block ×3, first 2 shown]
	v_fmac_f32_e32 v15, 0xbf5db3d7, v96
	v_fmamk_f32 v53, v100, 0xbf5db3d7, v10
	v_fmac_f32_e32 v10, 0x3f5db3d7, v100
	v_fmamk_f32 v54, v103, 0x3f5db3d7, v11
	;; [unrolled: 2-line block ×6, first 2 shown]
	v_fmac_f32_e32 v13, 0xbf5db3d7, v116
	ds_store_2addr_b64 v62, v[2:3], v[28:29] offset1:8
	ds_store_b64 v62, v[0:1] offset:128
	ds_store_2addr_b64 v91, v[4:5], v[30:31] offset1:8
	ds_store_b64 v91, v[18:19] offset:128
	;; [unrolled: 2-line block ×7, first 2 shown]
	global_wb scope:SCOPE_SE
	s_wait_dscnt 0x0
	s_barrier_signal -1
	s_barrier_wait -1
	global_inv scope:SCOPE_SE
	s_clause 0x1
	global_load_b128 v[28:31], v95, s[8:9] offset:192
	global_load_b128 v[24:27], v95, s[8:9] offset:208
	v_mul_lo_u16 v89, v75, 24
	v_mul_u32_u24_e32 v0, 6, v61
	global_load_b128 v[32:35], v95, s[8:9] offset:176
	v_mul_u32_u24_e32 v77, 6, v38
	v_mul_i32_i24_e32 v53, 6, v42
	v_sub_nc_u16 v1, v52, v89
	v_lshlrev_b32_e32 v0, 3, v0
	v_mov_b32_e32 v54, 0
	v_and_b32_e32 v78, 0xffff, v74
	v_lshlrev_b32_e32 v74, 3, v77
	v_and_b32_e32 v62, 0xff, v1
	s_clause 0x2
	global_load_b128 v[20:23], v0, s[8:9] offset:176
	global_load_b128 v[16:19], v0, s[8:9] offset:192
	;; [unrolled: 1-line block ×3, first 2 shown]
	v_lshlrev_b64_e32 v[107:108], 3, v[53:54]
	v_mul_u32_u24_e32 v53, 0x540, v78
	v_mul_u32_u24_e32 v1, 6, v62
	v_lshlrev_b32_e32 v77, 3, v60
	v_lshlrev_b32_e32 v78, 3, v61
	v_and_b32_e32 v76, 0xffff, v76
	v_lshlrev_b32_e32 v62, 3, v62
	v_lshlrev_b32_e32 v0, 3, v1
	s_clause 0x2
	global_load_b128 v[12:15], v0, s[8:9] offset:176
	global_load_b128 v[4:7], v0, s[8:9] offset:192
	;; [unrolled: 1-line block ×3, first 2 shown]
	ds_load_b64 v[60:61], v66
	ds_load_b64 v[111:112], v69
	;; [unrolled: 1-line block ×3, first 2 shown]
	v_and_b32_e32 v75, 0xffff, v75
	v_mul_u32_u24_e32 v76, 0x540, v76
	v_add_nc_u32_e32 v59, 0x800, v64
	v_add3_u32 v53, 0, v53, v77
	s_delay_alu instid0(VALU_DEP_3)
	v_add3_u32 v117, 0, v76, v78
	s_wait_loadcnt_dscnt 0x801
	v_mul_f32_e32 v120, v29, v112
	v_mul_u32_u24_e32 v75, 0x540, v75
	v_mul_f32_e32 v29, v29, v111
	s_wait_loadcnt 0x6
	v_mul_f32_e32 v118, v33, v61
	v_mul_f32_e32 v33, v33, v60
	v_add3_u32 v62, 0, v75, v62
	ds_load_2addr_b64 v[75:78], v58 offset0:104 offset1:160
	ds_load_2addr_b64 v[79:82], v64 offset1:224
	ds_load_2addr_b64 v[83:86], v56 offset0:72 offset1:128
	ds_load_2addr_b64 v[87:90], v56 offset0:184 offset1:240
	ds_load_b64 v[113:114], v68
	ds_load_2addr_b64 v[91:94], v59 offset0:24 offset1:136
	ds_load_2addr_b64 v[95:98], v55 offset0:64 offset1:176
	ds_load_b64 v[115:116], v67
	ds_load_2addr_b64 v[99:102], v43 offset0:88 offset1:144
	ds_load_2addr_b64 v[103:106], v57 offset0:40 offset1:96
	s_wait_dscnt 0xa
	v_dual_mul_f32 v119, v35, v110 :: v_dual_fmac_f32 v118, v32, v60
	v_mul_f32_e32 v35, v35, v109
	v_fma_f32 v32, v32, v61, -v33
	v_fmac_f32_e32 v120, v28, v111
	v_fma_f32 v28, v28, v112, -v29
	global_wb scope:SCOPE_SE
	s_wait_loadcnt_dscnt 0x0
	s_barrier_signal -1
	s_barrier_wait -1
	global_inv scope:SCOPE_SE
	v_mul_f32_e32 v121, v31, v78
	v_mul_f32_e32 v31, v31, v77
	v_dual_mul_f32 v122, v84, v25 :: v_dual_mul_f32 v123, v90, v27
	v_dual_mul_f32 v27, v89, v27 :: v_dual_mul_f32 v124, v82, v21
	v_mul_f32_e32 v21, v81, v21
	v_dual_mul_f32 v125, v94, v23 :: v_dual_mul_f32 v60, v76, v5
	v_dual_mul_f32 v23, v93, v23 :: v_dual_mul_f32 v126, v98, v17
	v_mul_f32_e32 v17, v97, v17
	v_dual_mul_f32 v127, v100, v19 :: v_dual_mul_f32 v128, v86, v9
	v_dual_mul_f32 v19, v99, v19 :: v_dual_fmac_f32 v124, v81, v20
	v_dual_mul_f32 v9, v85, v9 :: v_dual_fmac_f32 v122, v83, v24
	;; [unrolled: 1-line block ×3, first 2 shown]
	v_mul_f32_e32 v25, v83, v25
	v_dual_mul_f32 v11, v103, v11 :: v_dual_fmac_f32 v128, v85, v8
	v_dual_mul_f32 v33, v92, v13 :: v_dual_fmac_f32 v60, v75, v4
	v_fma_f32 v20, v82, v20, -v21
	v_fmac_f32_e32 v125, v93, v22
	v_mul_f32_e32 v29, v88, v1
	v_mul_f32_e32 v1, v87, v1
	v_fma_f32 v21, v94, v22, -v23
	v_fma_f32 v16, v98, v16, -v17
	v_fma_f32 v17, v100, v18, -v19
	v_fma_f32 v8, v86, v8, -v9
	v_fmac_f32_e32 v121, v30, v77
	v_fma_f32 v30, v30, v78, -v31
	v_fmac_f32_e32 v129, v103, v10
	v_mul_f32_e32 v31, v106, v3
	v_mul_f32_e32 v3, v105, v3
	v_fma_f32 v24, v84, v24, -v25
	v_fma_f32 v25, v90, v26, -v27
	v_fmac_f32_e32 v127, v99, v18
	v_sub_f32_e32 v23, v30, v28
	v_add_f32_e32 v27, v21, v8
	v_dual_add_f32 v19, v28, v30 :: v_dual_sub_f32 v28, v125, v128
	v_dual_sub_f32 v8, v21, v8 :: v_dual_fmac_f32 v119, v34, v109
	v_sub_f32_e32 v22, v121, v120
	v_fma_f32 v34, v34, v110, -v35
	v_mul_f32_e32 v35, v96, v15
	v_dual_mul_f32 v15, v95, v15 :: v_dual_add_f32 v18, v120, v121
	v_fmac_f32_e32 v29, v87, v0
	v_fma_f32 v0, v88, v0, -v1
	v_add_f32_e32 v30, v16, v17
	v_fma_f32 v1, v106, v2, -v3
	v_fmac_f32_e32 v123, v89, v26
	v_mul_f32_e32 v13, v91, v13
	v_fma_f32 v9, v104, v10, -v11
	v_dual_sub_f32 v26, v124, v129 :: v_dual_fmac_f32 v31, v105, v2
	s_delay_alu instid0(VALU_DEP_4) | instskip(NEXT) | instid1(VALU_DEP_4)
	v_add_f32_e32 v2, v118, v123
	v_fma_f32 v10, v92, v12, -v13
	v_mul_f32_e32 v61, v102, v7
	v_fma_f32 v11, v96, v14, -v15
	v_sub_f32_e32 v15, v34, v24
	v_add_f32_e32 v13, v34, v24
	v_add_f32_e32 v34, v10, v1
	v_dual_mul_f32 v5, v75, v5 :: v_dual_sub_f32 v16, v17, v16
	s_delay_alu instid0(VALU_DEP_4) | instskip(SKIP_1) | instid1(VALU_DEP_3)
	v_dual_add_f32 v3, v32, v25 :: v_dual_sub_f32 v82, v23, v15
	v_fmac_f32_e32 v33, v91, v12
	v_fma_f32 v4, v76, v4, -v5
	v_add_f32_e32 v12, v119, v122
	s_delay_alu instid0(VALU_DEP_4)
	v_dual_sub_f32 v76, v13, v3 :: v_dual_fmac_f32 v35, v95, v14
	v_sub_f32_e32 v14, v119, v122
	v_fmac_f32_e32 v61, v101, v6
	v_dual_add_f32 v17, v33, v31 :: v_dual_sub_f32 v90, v16, v8
	v_sub_f32_e32 v31, v33, v31
	v_add_f32_e32 v33, v11, v0
	s_delay_alu instid0(VALU_DEP_4) | instskip(SKIP_4) | instid1(VALU_DEP_3)
	v_dual_sub_f32 v0, v11, v0 :: v_dual_add_f32 v11, v60, v61
	v_sub_f32_e32 v60, v61, v60
	v_dual_mul_f32 v7, v101, v7 :: v_dual_add_f32 v24, v124, v129
	v_dual_add_f32 v21, v126, v127 :: v_dual_add_f32 v88, v16, v8
	v_sub_f32_e32 v1, v10, v1
	v_fma_f32 v5, v102, v6, -v7
	v_dual_sub_f32 v6, v118, v123 :: v_dual_sub_f32 v7, v32, v25
	v_add_f32_e32 v25, v20, v9
	v_sub_f32_e32 v9, v20, v9
	v_add_f32_e32 v10, v35, v29
	v_dual_add_f32 v20, v125, v128 :: v_dual_sub_f32 v81, v22, v14
	v_sub_f32_e32 v32, v127, v126
	s_delay_alu instid0(VALU_DEP_2)
	v_dual_add_f32 v83, v20, v24 :: v_dual_add_nc_u32 v110, 0x800, v67
	v_sub_f32_e32 v85, v20, v24
	v_dual_sub_f32 v20, v21, v20 :: v_dual_add_f32 v77, v22, v14
	v_sub_f32_e32 v100, v0, v1
	v_dual_sub_f32 v14, v14, v6 :: v_dual_sub_f32 v29, v35, v29
	v_sub_f32_e32 v16, v9, v16
	v_sub_f32_e32 v8, v8, v9
	v_dual_add_f32 v35, v4, v5 :: v_dual_sub_f32 v94, v33, v34
	v_dual_sub_f32 v4, v5, v4 :: v_dual_add_f32 v5, v12, v2
	v_add_f32_e32 v92, v33, v34
	s_delay_alu instid0(VALU_DEP_3) | instskip(SKIP_3) | instid1(VALU_DEP_4)
	v_sub_f32_e32 v34, v34, v35
	v_add_f32_e32 v61, v13, v3
	v_dual_sub_f32 v89, v32, v28 :: v_dual_sub_f32 v22, v6, v22
	v_sub_f32_e32 v24, v24, v21
	v_dual_mul_f32 v34, 0x3f4a47b2, v34 :: v_dual_add_f32 v87, v32, v28
	v_dual_sub_f32 v32, v26, v32 :: v_dual_sub_f32 v75, v12, v2
	v_sub_f32_e32 v2, v2, v18
	v_sub_f32_e32 v12, v18, v12
	;; [unrolled: 1-line block ×3, first 2 shown]
	v_add_f32_e32 v84, v27, v25
	v_sub_f32_e32 v86, v27, v25
	v_dual_sub_f32 v3, v3, v19 :: v_dual_add_f32 v96, v4, v0
	v_dual_sub_f32 v13, v19, v13 :: v_dual_sub_f32 v98, v4, v0
	v_dual_add_f32 v91, v10, v17 :: v_dual_mul_f32 v24, 0x3f4a47b2, v24
	v_dual_sub_f32 v93, v10, v17 :: v_dual_sub_f32 v10, v11, v10
	v_dual_mul_f32 v2, 0x3f4a47b2, v2 :: v_dual_add_f32 v19, v19, v61
	v_add_f32_e32 v78, v23, v15
	v_dual_sub_f32 v23, v7, v23 :: v_dual_add_f32 v18, v18, v5
	v_sub_f32_e32 v25, v25, v30
	v_sub_f32_e32 v27, v30, v27
	v_add_f32_e32 v95, v60, v29
	s_delay_alu instid0(VALU_DEP_4)
	v_dual_sub_f32 v97, v60, v29 :: v_dual_add_f32 v0, v18, v79
	v_sub_f32_e32 v99, v1, v4
	v_mul_f32_e32 v4, 0x3d64c772, v12
	v_add_f32_e32 v30, v30, v84
	v_dual_mul_f32 v84, 0x3f08b237, v89 :: v_dual_add_f32 v21, v21, v83
	v_dual_mul_f32 v3, 0x3f4a47b2, v3 :: v_dual_add_f32 v26, v87, v26
	v_dual_mul_f32 v87, 0x3f08b237, v90 :: v_dual_add_f32 v90, v96, v1
	v_dual_fmamk_f32 v12, v12, 0x3d64c772, v2 :: v_dual_add_f32 v1, v19, v80
	v_dual_sub_f32 v15, v15, v7 :: v_dual_add_f32 v6, v77, v6
	v_sub_f32_e32 v17, v17, v11
	v_dual_sub_f32 v33, v35, v33 :: v_dual_mul_f32 v96, 0x3f08b237, v98
	v_dual_sub_f32 v60, v31, v60 :: v_dual_sub_f32 v29, v29, v31
	v_mul_f32_e32 v5, 0x3d64c772, v13
	v_dual_add_f32 v9, v88, v9 :: v_dual_mul_f32 v88, 0xbf5ff5aa, v28
	v_dual_mul_f32 v98, 0xbf5ff5aa, v100 :: v_dual_add_f32 v31, v95, v31
	v_mul_f32_e32 v95, 0x3f08b237, v97
	v_add_f32_e32 v11, v11, v91
	v_mul_f32_e32 v61, 0x3f08b237, v81
	v_fma_f32 v79, 0x3f3bfb3b, v75, -v4
	v_fma_f32 v75, 0xbf3bfb3b, v75, -v2
	v_add_f32_e32 v2, v21, v113
	v_dual_add_f32 v4, v11, v115 :: v_dual_fmamk_f32 v13, v13, 0x3d64c772, v3
	v_fmamk_f32 v19, v19, 0xbf955555, v1
	v_mul_f32_e32 v77, 0x3f08b237, v82
	v_dual_add_f32 v7, v78, v7 :: v_dual_mul_f32 v78, 0xbf5ff5aa, v14
	v_dual_add_f32 v35, v35, v92 :: v_dual_fmamk_f32 v18, v18, 0xbf955555, v0
	v_mul_f32_e32 v81, 0xbf5ff5aa, v15
	v_fmamk_f32 v101, v22, 0xbeae86e6, v61
	v_fma_f32 v14, 0xbf5ff5aa, v14, -v61
	v_fma_f32 v22, 0x3eae86e6, v22, -v78
	v_fmamk_f32 v78, v32, 0xbeae86e6, v84
	v_fma_f32 v28, 0xbf5ff5aa, v28, -v84
	v_fma_f32 v32, 0x3eae86e6, v32, -v88
	v_mul_f32_e32 v25, 0x3f4a47b2, v25
	v_mul_f32_e32 v82, 0x3d64c772, v20
	v_fmamk_f32 v20, v20, 0x3d64c772, v24
	v_fma_f32 v80, 0x3f3bfb3b, v76, -v5
	v_fma_f32 v76, 0xbf3bfb3b, v76, -v3
	v_add_f32_e32 v3, v30, v114
	v_dual_add_f32 v5, v35, v116 :: v_dual_fmac_f32 v22, 0xbee1c552, v6
	v_fmac_f32_e32 v101, 0xbee1c552, v6
	v_fmac_f32_e32 v14, 0xbee1c552, v6
	v_fmamk_f32 v6, v21, 0xbf955555, v2
	v_fmac_f32_e32 v78, 0xbee1c552, v26
	v_fmac_f32_e32 v28, 0xbee1c552, v26
	;; [unrolled: 1-line block ×3, first 2 shown]
	v_dual_add_f32 v21, v12, v18 :: v_dual_add_f32 v26, v13, v19
	v_fmamk_f32 v102, v23, 0xbeae86e6, v77
	v_fma_f32 v15, 0xbf5ff5aa, v15, -v77
	v_add_f32_e32 v12, v79, v18
	v_fma_f32 v23, 0x3eae86e6, v23, -v81
	v_mul_f32_e32 v83, 0x3d64c772, v27
	v_mul_f32_e32 v17, 0x3f4a47b2, v17
	;; [unrolled: 1-line block ×3, first 2 shown]
	v_fmac_f32_e32 v102, 0xbee1c552, v7
	v_fmac_f32_e32 v15, 0xbee1c552, v7
	v_mul_f32_e32 v97, 0xbf5ff5aa, v29
	v_fmac_f32_e32 v23, 0xbee1c552, v7
	v_dual_fmamk_f32 v7, v30, 0xbf955555, v3 :: v_dual_add_f32 v18, v75, v18
	v_fmamk_f32 v27, v27, 0x3d64c772, v25
	v_fma_f32 v25, 0xbf3bfb3b, v86, -v25
	v_mul_f32_e32 v89, 0xbf5ff5aa, v8
	v_mul_f32_e32 v91, 0x3d64c772, v10
	v_fma_f32 v61, 0x3f3bfb3b, v85, -v82
	v_fmamk_f32 v84, v60, 0xbeae86e6, v95
	v_fma_f32 v88, 0x3eae86e6, v60, -v97
	v_dual_add_f32 v30, v27, v7 :: v_dual_fmamk_f32 v81, v16, 0xbeae86e6, v87
	v_fma_f32 v82, 0xbf5ff5aa, v8, -v87
	v_fmamk_f32 v8, v10, 0x3d64c772, v17
	v_fmamk_f32 v10, v33, 0x3d64c772, v34
	v_fma_f32 v77, 0x3f3bfb3b, v86, -v83
	v_add_f32_e32 v60, v25, v7
	v_fma_f32 v83, 0x3eae86e6, v16, -v89
	v_fma_f32 v89, 0x3eae86e6, v99, -v98
	;; [unrolled: 1-line block ×4, first 2 shown]
	v_fmac_f32_e32 v81, 0xbee1c552, v9
	v_fmac_f32_e32 v82, 0xbee1c552, v9
	v_fmac_f32_e32 v83, 0xbee1c552, v9
	v_fmamk_f32 v9, v11, 0xbf955555, v4
	v_dual_fmac_f32 v88, 0xbee1c552, v31 :: v_dual_fmac_f32 v89, 0xbee1c552, v90
	v_fmamk_f32 v11, v35, 0xbf955555, v5
	v_add_f32_e32 v27, v61, v6
	v_fma_f32 v86, 0xbf5ff5aa, v29, -v95
	v_fma_f32 v87, 0xbf5ff5aa, v100, -v96
	v_add_f32_e32 v35, v24, v6
	v_fma_f32 v33, 0x3f3bfb3b, v94, -v92
	v_add_f32_e32 v24, v82, v27
	v_add_f32_e32 v13, v80, v19
	;; [unrolled: 1-line block ×3, first 2 shown]
	v_fma_f32 v17, 0xbf3bfb3b, v93, -v17
	v_dual_fmac_f32 v86, 0xbee1c552, v31 :: v_dual_fmac_f32 v87, 0xbee1c552, v90
	v_add_f32_e32 v19, v76, v19
	s_delay_alu instid0(VALU_DEP_3) | instskip(SKIP_2) | instid1(VALU_DEP_4)
	v_dual_add_f32 v79, v10, v11 :: v_dual_add_f32 v76, v17, v9
	v_fma_f32 v16, 0x3f3bfb3b, v93, -v91
	v_sub_f32_e32 v10, v12, v15
	v_dual_add_f32 v12, v15, v12 :: v_dual_add_f32 v15, v22, v19
	v_add_f32_e32 v17, v101, v26
	s_delay_alu instid0(VALU_DEP_4) | instskip(SKIP_1) | instid1(VALU_DEP_2)
	v_add_f32_e32 v61, v16, v9
	v_dual_add_f32 v29, v20, v6 :: v_dual_add_f32 v20, v83, v35
	v_dual_sub_f32 v34, v61, v87 :: v_dual_fmamk_f32 v85, v99, 0xbeae86e6, v96
	v_fmac_f32_e32 v84, 0xbee1c552, v31
	v_add_f32_e32 v31, v77, v7
	v_add_f32_e32 v77, v8, v9
	v_dual_sub_f32 v7, v26, v101 :: v_dual_add_f32 v8, v23, v18
	v_sub_f32_e32 v9, v19, v22
	v_sub_f32_e32 v22, v27, v82
	;; [unrolled: 1-line block ×3, first 2 shown]
	v_add_f32_e32 v6, v102, v21
	v_dual_sub_f32 v16, v21, v102 :: v_dual_sub_f32 v21, v60, v32
	v_add_f32_e32 v27, v32, v60
	v_add_f32_e32 v32, v89, v76
	;; [unrolled: 1-line block ×4, first 2 shown]
	v_dual_sub_f32 v13, v13, v14 :: v_dual_sub_f32 v14, v18, v23
	v_dual_add_f32 v18, v81, v29 :: v_dual_fmac_f32 v85, 0xbee1c552, v90
	v_sub_f32_e32 v19, v30, v78
	v_add_f32_e32 v23, v28, v31
	v_dual_sub_f32 v25, v31, v28 :: v_dual_sub_f32 v28, v29, v81
	s_delay_alu instid0(VALU_DEP_4)
	v_dual_add_f32 v29, v78, v30 :: v_dual_add_f32 v30, v85, v77
	v_sub_f32_e32 v31, v79, v84
	v_sub_f32_e32 v33, v80, v88
	v_dual_add_f32 v35, v86, v75 :: v_dual_add_f32 v60, v87, v61
	v_sub_f32_e32 v61, v75, v86
	v_sub_f32_e32 v75, v76, v89
	v_dual_add_f32 v76, v88, v80 :: v_dual_sub_f32 v77, v77, v85
	v_add_f32_e32 v78, v84, v79
	ds_store_2addr_b64 v53, v[0:1], v[6:7] offset1:24
	ds_store_2addr_b64 v53, v[8:9], v[10:11] offset0:48 offset1:72
	ds_store_2addr_b64 v53, v[12:13], v[14:15] offset0:96 offset1:120
	ds_store_b64 v53, v[16:17] offset:1152
	ds_store_2addr_b64 v117, v[2:3], v[18:19] offset1:24
	ds_store_2addr_b64 v117, v[20:21], v[22:23] offset0:48 offset1:72
	ds_store_2addr_b64 v117, v[24:25], v[26:27] offset0:96 offset1:120
	ds_store_b64 v117, v[28:29] offset:1152
	;; [unrolled: 4-line block ×3, first 2 shown]
	v_mul_i32_i24_e32 v53, 6, v52
	v_add_co_u32 v20, s1, s8, v107
	s_wait_alu 0xf1ff
	v_add_co_ci_u32_e64 v21, s1, s9, v108, s1
	s_delay_alu instid0(VALU_DEP_3)
	v_lshlrev_b64_e32 v[22:23], 3, v[53:54]
	global_wb scope:SCOPE_SE
	s_wait_dscnt 0x0
	s_barrier_signal -1
	s_barrier_wait -1
	global_inv scope:SCOPE_SE
	s_clause 0x4
	global_load_b128 v[0:3], v74, s[8:9] offset:1328
	global_load_b128 v[4:7], v74, s[8:9] offset:1344
	;; [unrolled: 1-line block ×3, first 2 shown]
	global_load_b128 v[12:15], v[20:21], off offset:1328
	global_load_b128 v[16:19], v[20:21], off offset:1344
	v_add_co_u32 v32, s1, s8, v22
	s_wait_alu 0xf1ff
	v_add_co_ci_u32_e64 v33, s1, s9, v23, s1
	s_clause 0x3
	global_load_b128 v[20:23], v[20:21], off offset:1360
	global_load_b128 v[24:27], v[32:33], off offset:1328
	;; [unrolled: 1-line block ×4, first 2 shown]
	ds_load_b64 v[60:61], v66
	ds_load_b64 v[104:105], v69
	;; [unrolled: 1-line block ×3, first 2 shown]
	ds_load_2addr_b64 v[74:77], v58 offset0:104 offset1:160
	ds_load_2addr_b64 v[78:81], v64 offset1:224
	ds_load_2addr_b64 v[82:85], v56 offset0:72 offset1:128
	ds_load_2addr_b64 v[86:89], v56 offset0:184 offset1:240
	ds_load_b64 v[106:107], v68
	ds_load_2addr_b64 v[90:93], v59 offset0:24 offset1:136
	ds_load_2addr_b64 v[94:97], v55 offset0:64 offset1:176
	;; [unrolled: 1-line block ×4, first 2 shown]
	ds_load_b64 v[108:109], v67
	v_add_nc_u32_e32 v62, 0x1400, v68
	global_wb scope:SCOPE_SE
	s_wait_loadcnt_dscnt 0x0
	s_barrier_signal -1
	s_barrier_wait -1
	global_inv scope:SCOPE_SE
	v_mul_f32_e32 v112, v1, v61
	v_mul_f32_e32 v114, v5, v105
	;; [unrolled: 1-line block ×3, first 2 shown]
	v_dual_mul_f32 v120, v97, v17 :: v_dual_mul_f32 v121, v99, v19
	s_delay_alu instid0(VALU_DEP_4) | instskip(NEXT) | instid1(VALU_DEP_4)
	v_fmac_f32_e32 v112, v0, v60
	v_fmac_f32_e32 v114, v4, v104
	v_mul_f32_e32 v123, v56, v23
	s_delay_alu instid0(VALU_DEP_4) | instskip(SKIP_4) | instid1(VALU_DEP_4)
	v_dual_fmac_f32 v120, v96, v16 :: v_dual_fmac_f32 v121, v98, v18
	v_mul_f32_e32 v115, v7, v77
	v_mul_f32_e32 v124, v91, v25
	v_dual_mul_f32 v7, v7, v76 :: v_dual_mul_f32 v122, v85, v21
	v_fmac_f32_e32 v118, v80, v12
	v_fmac_f32_e32 v115, v6, v76
	v_dual_mul_f32 v1, v1, v60 :: v_dual_mul_f32 v60, v58, v35
	v_fmac_f32_e32 v123, v55, v22
	v_mul_f32_e32 v5, v5, v104
	v_fmac_f32_e32 v124, v90, v24
	v_mul_f32_e32 v116, v83, v9
	;; [unrolled: 2-line block ×3, first 2 shown]
	v_mul_f32_e32 v15, v92, v15
	v_mul_f32_e32 v25, v90, v25
	v_fma_f32 v4, v4, v105, -v5
	v_fma_f32 v5, v6, v77, -v7
	v_mul_f32_e32 v113, v3, v103
	v_fmac_f32_e32 v119, v92, v14
	v_dual_fmac_f32 v122, v84, v20 :: v_dual_mul_f32 v9, v82, v9
	v_dual_fmac_f32 v116, v82, v8 :: v_dual_mul_f32 v125, v95, v27
	v_dual_mul_f32 v126, v75, v29 :: v_dual_add_nc_u32 v111, 0x1400, v67
	s_delay_alu instid0(VALU_DEP_3) | instskip(SKIP_2) | instid1(VALU_DEP_4)
	v_fma_f32 v6, v83, v8, -v9
	v_fma_f32 v9, v93, v14, -v15
	;; [unrolled: 1-line block ×3, first 2 shown]
	v_dual_fmac_f32 v126, v74, v28 :: v_dual_add_f32 v25, v4, v5
	v_dual_sub_f32 v4, v5, v4 :: v_dual_add_f32 v5, v118, v123
	v_fmac_f32_e32 v113, v2, v102
	v_mul_f32_e32 v3, v3, v102
	v_fmac_f32_e32 v125, v94, v26
	v_mul_f32_e32 v117, v89, v11
	s_delay_alu instid0(VALU_DEP_4)
	v_dual_mul_f32 v19, v98, v19 :: v_dual_sub_f32 v24, v113, v116
	v_mul_f32_e32 v27, v94, v27
	v_mul_f32_e32 v35, v57, v35
	v_fma_f32 v2, v2, v103, -v3
	v_mul_f32_e32 v3, v87, v33
	v_mul_f32_e32 v33, v86, v33
	v_fma_f32 v15, v95, v26, -v27
	v_sub_f32_e32 v26, v115, v114
	v_fma_f32 v0, v0, v61, -v1
	v_mul_f32_e32 v1, v101, v31
	v_mul_f32_e32 v31, v100, v31
	v_fmac_f32_e32 v117, v88, v10
	v_mul_f32_e32 v21, v84, v21
	v_mul_f32_e32 v23, v55, v23
	v_fmac_f32_e32 v1, v100, v30
	v_mul_f32_e32 v11, v88, v11
	s_delay_alu instid0(VALU_DEP_1)
	v_fma_f32 v7, v89, v10, -v11
	v_fma_f32 v11, v99, v18, -v19
	;; [unrolled: 1-line block ×3, first 2 shown]
	v_mul_f32_e32 v17, v96, v17
	v_fma_f32 v18, v87, v32, -v33
	v_sub_f32_e32 v34, v124, v60
	v_add_nc_u32_e32 v53, 0x800, v68
	v_add_f32_e32 v33, v14, v19
	v_sub_f32_e32 v14, v14, v19
	v_fma_f32 v10, v97, v16, -v17
	v_mul_f32_e32 v13, v80, v13
	v_fma_f32 v17, v101, v30, -v31
	v_add_f32_e32 v35, v15, v18
	v_sub_f32_e32 v15, v15, v18
	v_dual_add_f32 v31, v10, v11 :: v_dual_sub_f32 v10, v11, v10
	v_dual_add_f32 v18, v126, v1 :: v_dual_add_f32 v11, v124, v60
	v_add_f32_e32 v60, v26, v24
	v_fmac_f32_e32 v3, v86, v32
	v_sub_f32_e32 v1, v1, v126
	v_fma_f32 v8, v81, v12, -v13
	v_fma_f32 v12, v85, v20, -v21
	v_add_f32_e32 v21, v0, v7
	v_add_f32_e32 v19, v125, v3
	v_dual_sub_f32 v3, v125, v3 :: v_dual_sub_f32 v94, v34, v1
	v_sub_f32_e32 v0, v0, v7
	s_delay_alu instid0(VALU_DEP_2) | instskip(SKIP_1) | instid1(VALU_DEP_2)
	v_add_f32_e32 v90, v1, v3
	v_dual_sub_f32 v32, v121, v120 :: v_dual_sub_f32 v95, v3, v34
	v_add_f32_e32 v34, v90, v34
	v_sub_f32_e32 v88, v19, v11
	v_dual_sub_f32 v30, v119, v122 :: v_dual_mul_f32 v29, v74, v29
	v_sub_f32_e32 v74, v26, v24
	v_fma_f32 v13, v56, v22, -v23
	v_add_f32_e32 v86, v19, v11
	s_delay_alu instid0(VALU_DEP_4) | instskip(SKIP_4) | instid1(VALU_DEP_4)
	v_add_f32_e32 v82, v32, v30
	v_fma_f32 v16, v75, v28, -v29
	v_dual_add_f32 v29, v9, v12 :: v_dual_sub_f32 v84, v32, v30
	v_sub_f32_e32 v19, v18, v19
	v_sub_f32_e32 v11, v11, v18
	v_dual_add_f32 v55, v16, v17 :: v_dual_sub_f32 v16, v17, v16
	v_add_f32_e32 v18, v18, v86
	s_delay_alu instid0(VALU_DEP_4) | instskip(NEXT) | instid1(VALU_DEP_3)
	v_mul_f32_e32 v86, 0x3d64c772, v19
	v_add_f32_e32 v91, v16, v15
	v_dual_sub_f32 v93, v16, v15 :: v_dual_sub_f32 v16, v14, v16
	v_sub_f32_e32 v15, v15, v14
	s_delay_alu instid0(VALU_DEP_3) | instskip(SKIP_3) | instid1(VALU_DEP_3)
	v_add_f32_e32 v14, v91, v14
	v_sub_f32_e32 v92, v1, v3
	v_dual_sub_f32 v28, v118, v123 :: v_dual_add_f32 v27, v8, v13
	v_sub_f32_e32 v8, v8, v13
	v_mul_f32_e32 v90, 0x3f08b237, v92
	s_delay_alu instid0(VALU_DEP_3) | instskip(SKIP_3) | instid1(VALU_DEP_3)
	v_sub_f32_e32 v30, v30, v28
	v_dual_sub_f32 v22, v112, v117 :: v_dual_sub_f32 v9, v9, v12
	v_dual_add_f32 v12, v120, v121 :: v_dual_add_f32 v13, v119, v122
	v_add_f32_e32 v20, v112, v117
	v_sub_f32_e32 v26, v22, v26
	v_sub_f32_e32 v24, v24, v22
	v_add_f32_e32 v23, v2, v6
	v_sub_f32_e32 v2, v2, v6
	v_add_f32_e32 v6, v114, v115
	v_add_f32_e32 v22, v60, v22
	v_mul_f32_e32 v60, 0x3f08b237, v74
	v_mul_f32_e32 v74, 0xbf5ff5aa, v24
	v_sub_f32_e32 v80, v13, v5
	v_add_f32_e32 v7, v113, v116
	v_sub_f32_e32 v32, v28, v32
	v_add_f32_e32 v28, v82, v28
	v_dual_mul_f32 v82, 0x3f08b237, v84 :: v_dual_add_f32 v87, v35, v33
	s_delay_alu instid0(VALU_DEP_4)
	v_add_f32_e32 v17, v7, v20
	v_dual_sub_f32 v89, v35, v33 :: v_dual_mul_f32 v92, 0xbf5ff5aa, v95
	v_dual_sub_f32 v33, v33, v55 :: v_dual_add_f32 v56, v23, v21
	v_dual_sub_f32 v58, v23, v21 :: v_dual_add_f32 v61, v4, v2
	v_sub_f32_e32 v75, v4, v2
	v_sub_f32_e32 v4, v0, v4
	v_dual_sub_f32 v57, v7, v20 :: v_dual_sub_f32 v20, v20, v6
	v_dual_sub_f32 v7, v6, v7 :: v_dual_add_f32 v76, v13, v5
	v_dual_sub_f32 v35, v55, v35 :: v_dual_add_f32 v6, v6, v17
	v_mul_f32_e32 v33, 0x3f4a47b2, v33
	v_dual_sub_f32 v23, v25, v23 :: v_dual_sub_f32 v2, v2, v0
	v_sub_f32_e32 v13, v12, v13
	v_add_f32_e32 v17, v25, v56
	v_fma_f32 v24, 0xbf5ff5aa, v24, -v60
	s_delay_alu instid0(VALU_DEP_4) | instskip(SKIP_4) | instid1(VALU_DEP_4)
	v_dual_sub_f32 v5, v5, v12 :: v_dual_mul_f32 v56, 0x3d64c772, v23
	v_dual_add_f32 v12, v12, v76 :: v_dual_sub_f32 v21, v21, v25
	v_dual_add_f32 v25, v61, v0 :: v_dual_add_f32 v0, v78, v6
	v_mul_f32_e32 v3, 0x3f4a47b2, v20
	v_mul_f32_e32 v84, 0xbf5ff5aa, v30
	;; [unrolled: 1-line block ×3, first 2 shown]
	v_add_f32_e32 v83, v10, v9
	v_fmamk_f32 v6, v6, 0xbf955555, v0
	v_mul_f32_e32 v61, 0x3f08b237, v75
	v_mul_f32_e32 v75, 0xbf5ff5aa, v2
	v_fmamk_f32 v23, v23, 0x3d64c772, v20
	v_fma_f32 v56, 0x3f3bfb3b, v58, -v56
	v_fma_f32 v20, 0xbf3bfb3b, v58, -v20
	v_fmamk_f32 v58, v26, 0xbeae86e6, v60
	v_fmamk_f32 v78, v4, 0xbeae86e6, v61
	v_fma_f32 v26, 0x3eae86e6, v26, -v74
	v_fma_f32 v30, 0xbf5ff5aa, v30, -v82
	v_dual_sub_f32 v85, v10, v9 :: v_dual_sub_f32 v10, v8, v10
	v_fma_f32 v60, 0xbf5ff5aa, v2, -v61
	v_fma_f32 v61, 0x3eae86e6, v4, -v75
	s_delay_alu instid0(VALU_DEP_4)
	v_fmac_f32_e32 v30, 0xbee1c552, v28
	v_add_f32_e32 v2, v106, v12
	v_dual_add_f32 v4, v108, v18 :: v_dual_sub_f32 v9, v9, v8
	v_dual_add_f32 v8, v83, v8 :: v_dual_mul_f32 v83, 0x3f08b237, v85
	v_fmac_f32_e32 v78, 0xbee1c552, v25
	v_fmac_f32_e32 v24, 0xbee1c552, v22
	v_mul_f32_e32 v5, 0x3f4a47b2, v5
	v_fmac_f32_e32 v26, 0xbee1c552, v22
	v_dual_mul_f32 v76, 0x3d64c772, v13 :: v_dual_sub_f32 v81, v29, v27
	v_dual_add_f32 v77, v29, v27 :: v_dual_fmac_f32 v58, 0xbee1c552, v22
	v_dual_sub_f32 v27, v27, v31 :: v_dual_fmac_f32 v60, 0xbee1c552, v25
	v_dual_sub_f32 v29, v31, v29 :: v_dual_fmamk_f32 v12, v12, 0xbf955555, v2
	v_add_f32_e32 v1, v79, v17
	v_fma_f32 v74, 0x3f3bfb3b, v80, -v76
	v_fma_f32 v76, 0xbf3bfb3b, v80, -v5
	v_fmamk_f32 v79, v10, 0xbeae86e6, v83
	v_fma_f32 v80, 0xbf5ff5aa, v9, -v83
	v_add_f32_e32 v31, v31, v77
	v_fmac_f32_e32 v61, 0xbee1c552, v25
	v_mul_f32_e32 v27, 0x3f4a47b2, v27
	v_fmac_f32_e32 v79, 0xbee1c552, v8
	v_mul_f32_e32 v77, 0x3d64c772, v29
	v_fmac_f32_e32 v80, 0xbee1c552, v8
	v_add_f32_e32 v25, v74, v12
	v_mul_f32_e32 v85, 0xbf5ff5aa, v9
	v_fmamk_f32 v13, v13, 0x3d64c772, v5
	v_fmamk_f32 v29, v29, 0x3d64c772, v27
	v_fma_f32 v75, 0x3f3bfb3b, v81, -v77
	v_fma_f32 v27, 0xbf3bfb3b, v81, -v27
	v_fmamk_f32 v77, v32, 0xbeae86e6, v82
	v_fma_f32 v32, 0x3eae86e6, v32, -v84
	v_fma_f32 v81, 0x3eae86e6, v10, -v85
	;; [unrolled: 1-line block ×3, first 2 shown]
	v_mul_f32_e32 v21, 0x3d64c772, v7
	v_fmac_f32_e32 v77, 0xbee1c552, v28
	v_fmac_f32_e32 v32, 0xbee1c552, v28
	s_delay_alu instid0(VALU_DEP_4) | instskip(SKIP_3) | instid1(VALU_DEP_3)
	v_dual_fmac_f32 v81, 0xbee1c552, v8 :: v_dual_fmac_f32 v84, 0xbee1c552, v34
	v_dual_mul_f32 v91, 0x3f08b237, v93 :: v_dual_add_f32 v28, v13, v12
	v_mul_f32_e32 v11, 0x3f4a47b2, v11
	v_dual_fmamk_f32 v8, v18, 0xbf955555, v4 :: v_dual_add_f32 v55, v55, v87
	v_fmamk_f32 v83, v16, 0xbeae86e6, v91
	v_fma_f32 v21, 0x3f3bfb3b, v57, -v21
	s_delay_alu instid0(VALU_DEP_4)
	v_fmamk_f32 v9, v19, 0x3d64c772, v11
	v_fma_f32 v19, 0x3f3bfb3b, v88, -v86
	v_fma_f32 v86, 0x3eae86e6, v94, -v92
	v_fmac_f32_e32 v83, 0xbee1c552, v14
	v_add_f32_e32 v5, v109, v55
	v_dual_add_f32 v74, v9, v8 :: v_dual_mul_f32 v93, 0xbf5ff5aa, v15
	s_delay_alu instid0(VALU_DEP_4) | instskip(SKIP_4) | instid1(VALU_DEP_4)
	v_fmac_f32_e32 v86, 0xbee1c552, v34
	v_dual_mul_f32 v87, 0x3d64c772, v35 :: v_dual_fmamk_f32 v10, v35, 0x3d64c772, v33
	v_fma_f32 v85, 0xbf5ff5aa, v15, -v91
	v_fma_f32 v33, 0xbf3bfb3b, v89, -v33
	v_fmamk_f32 v82, v94, 0xbeae86e6, v90
	v_fma_f32 v35, 0x3f3bfb3b, v89, -v87
	v_fma_f32 v87, 0x3eae86e6, v16, -v93
	v_fmamk_f32 v15, v17, 0xbf955555, v1
	v_fmamk_f32 v17, v55, 0xbf955555, v5
	v_fmac_f32_e32 v85, 0xbee1c552, v14
	v_fmac_f32_e32 v82, 0xbee1c552, v34
	;; [unrolled: 1-line block ×3, first 2 shown]
	v_add_f32_e32 v14, v21, v6
	v_add_f32_e32 v34, v76, v12
	v_dual_add_f32 v76, v33, v17 :: v_dual_fmamk_f32 v7, v7, 0x3d64c772, v3
	v_fma_f32 v57, 0xbf3bfb3b, v57, -v3
	s_delay_alu instid0(VALU_DEP_4) | instskip(SKIP_3) | instid1(VALU_DEP_4)
	v_dual_add_f32 v12, v60, v14 :: v_dual_add_f32 v3, v107, v31
	v_add_f32_e32 v22, v23, v15
	v_add_f32_e32 v21, v56, v15
	v_add_f32_e32 v15, v20, v15
	v_dual_add_f32 v23, v57, v6 :: v_dual_fmamk_f32 v16, v31, 0xbf955555, v3
	v_add_f32_e32 v55, v19, v8
	v_add_f32_e32 v56, v35, v17
	s_delay_alu instid0(VALU_DEP_4)
	v_sub_f32_e32 v9, v15, v26
	v_add_f32_e32 v15, v26, v15
	v_add_f32_e32 v31, v75, v16
	;; [unrolled: 1-line block ×3, first 2 shown]
	v_sub_f32_e32 v10, v14, v60
	v_sub_f32_e32 v60, v74, v83
	v_add_f32_e32 v18, v7, v6
	v_sub_f32_e32 v26, v34, v81
	v_fma_f32 v11, 0xbf3bfb3b, v88, -v11
	v_add_f32_e32 v29, v29, v16
	s_delay_alu instid0(VALU_DEP_4) | instskip(SKIP_1) | instid1(VALU_DEP_4)
	v_dual_add_f32 v27, v27, v16 :: v_dual_add_f32 v6, v78, v18
	v_sub_f32_e32 v7, v22, v58
	v_dual_add_f32 v57, v11, v8 :: v_dual_add_f32 v8, v61, v23
	v_add_f32_e32 v11, v24, v21
	v_dual_sub_f32 v13, v21, v24 :: v_dual_sub_f32 v14, v23, v61
	v_sub_f32_e32 v16, v18, v78
	v_dual_add_f32 v17, v58, v22 :: v_dual_add_f32 v18, v79, v28
	v_sub_f32_e32 v19, v29, v77
	v_dual_add_f32 v20, v81, v34 :: v_dual_sub_f32 v21, v27, v32
	v_dual_sub_f32 v22, v25, v80 :: v_dual_add_f32 v23, v30, v31
	v_dual_add_f32 v24, v80, v25 :: v_dual_sub_f32 v25, v31, v30
	v_add_f32_e32 v27, v32, v27
	v_dual_sub_f32 v28, v28, v79 :: v_dual_add_f32 v29, v77, v29
	v_add_f32_e32 v30, v83, v74
	v_sub_f32_e32 v31, v75, v82
	v_dual_add_f32 v32, v87, v57 :: v_dual_sub_f32 v33, v76, v86
	v_dual_sub_f32 v34, v55, v85 :: v_dual_add_f32 v35, v84, v56
	v_dual_add_f32 v55, v85, v55 :: v_dual_sub_f32 v56, v56, v84
	v_dual_sub_f32 v57, v57, v87 :: v_dual_add_f32 v58, v86, v76
	v_add_f32_e32 v61, v82, v75
	ds_store_2addr_b64 v64, v[0:1], v[6:7] offset1:168
	ds_store_2addr_b64 v59, v[8:9], v[10:11] offset0:80 offset1:248
	ds_store_2addr_b64 v43, v[12:13], v[14:15] offset0:32 offset1:200
	ds_store_b64 v64, v[16:17] offset:8064
	ds_store_2addr_b64 v68, v[2:3], v[18:19] offset1:168
	ds_store_2addr_b64 v53, v[20:21], v[22:23] offset0:80 offset1:248
	ds_store_2addr_b64 v62, v[24:25], v[26:27] offset0:32 offset1:200
	ds_store_b64 v68, v[28:29] offset:8064
	;; [unrolled: 4-line block ×3, first 2 shown]
	global_wb scope:SCOPE_SE
	s_wait_dscnt 0x0
	s_barrier_signal -1
	s_barrier_wait -1
	global_inv scope:SCOPE_SE
	ds_load_b64 v[2:3], v64
	v_sub_nc_u32_e32 v4, 0, v39
                                        ; implicit-def: $vgpr1
                                        ; implicit-def: $vgpr5
	v_cmpx_ne_u32_e32 0, v38
	s_wait_alu 0xfffe
	s_xor_b32 s4, exec_lo, s4
	s_cbranch_execz .LBB0_25
; %bb.24:
	v_mov_b32_e32 v39, v54
	s_delay_alu instid0(VALU_DEP_1) | instskip(NEXT) | instid1(VALU_DEP_1)
	v_lshlrev_b64_e32 v[0:1], 3, v[38:39]
	v_add_co_u32 v0, s1, s8, v0
	s_wait_alu 0xf1ff
	s_delay_alu instid0(VALU_DEP_2)
	v_add_co_ci_u32_e64 v1, s1, s9, v1, s1
	global_load_b64 v[6:7], v[0:1], off offset:9392
	ds_load_b64 v[0:1], v4 offset:9408
	s_wait_dscnt 0x0
	v_dual_add_f32 v8, v1, v3 :: v_dual_sub_f32 v5, v2, v0
	v_dual_add_f32 v0, v0, v2 :: v_dual_sub_f32 v1, v3, v1
	s_delay_alu instid0(VALU_DEP_2) | instskip(NEXT) | instid1(VALU_DEP_2)
	v_dual_mul_f32 v2, 0.5, v8 :: v_dual_mul_f32 v3, 0.5, v5
	v_mul_f32_e32 v1, 0.5, v1
	s_wait_loadcnt 0x0
	s_delay_alu instid0(VALU_DEP_2) | instskip(NEXT) | instid1(VALU_DEP_2)
	v_mul_f32_e32 v5, v7, v3
	v_fma_f32 v8, v2, v7, v1
	v_fma_f32 v1, v2, v7, -v1
	s_delay_alu instid0(VALU_DEP_3) | instskip(SKIP_1) | instid1(VALU_DEP_4)
	v_fma_f32 v9, 0.5, v0, v5
	v_fma_f32 v0, v0, 0.5, -v5
	v_fma_f32 v5, -v6, v3, v8
	s_delay_alu instid0(VALU_DEP_4) | instskip(NEXT) | instid1(VALU_DEP_4)
	v_fma_f32 v1, -v6, v3, v1
	v_fmac_f32_e32 v9, v6, v2
	s_delay_alu instid0(VALU_DEP_4)
	v_fma_f32 v0, -v6, v2, v0
                                        ; implicit-def: $vgpr2_vgpr3
	ds_store_b32 v64, v9
.LBB0_25:
	s_wait_alu 0xfffe
	s_and_not1_saveexec_b32 s1, s4
	s_cbranch_execz .LBB0_27
; %bb.26:
	s_wait_dscnt 0x0
	v_dual_mov_b32 v5, 0 :: v_dual_add_f32 v6, v2, v3
	v_sub_f32_e32 v0, v2, v3
	ds_load_b32 v1, v5 offset:4708
	s_wait_dscnt 0x0
	v_xor_b32_e32 v2, 0x80000000, v1
	v_mov_b32_e32 v1, v5
	ds_store_b32 v64, v6
	ds_store_b32 v5, v2 offset:4708
.LBB0_27:
	s_wait_alu 0xfffe
	s_or_b32 exec_lo, exec_lo, s1
	v_mov_b32_e32 v43, 0
	ds_store_b32 v64, v5 offset:4
	ds_store_b64 v4, v[0:1] offset:9408
	s_wait_dscnt 0x2
	v_lshlrev_b64_e32 v[2:3], 3, v[42:43]
	v_mov_b32_e32 v53, v43
	s_delay_alu instid0(VALU_DEP_1) | instskip(SKIP_1) | instid1(VALU_DEP_4)
	v_lshlrev_b64_e32 v[6:7], 3, v[52:53]
	v_mov_b32_e32 v52, v43
	v_add_co_u32 v2, s1, s8, v2
	s_wait_alu 0xf1ff
	v_add_co_ci_u32_e64 v3, s1, s9, v3, s1
	s_delay_alu instid0(VALU_DEP_4)
	v_add_co_u32 v6, s1, s8, v6
	s_wait_alu 0xf1ff
	v_add_co_ci_u32_e64 v7, s1, s9, v7, s1
	global_load_b64 v[2:3], v[2:3], off offset:9392
	v_lshlrev_b64_e32 v[8:9], 3, v[51:52]
	v_mov_b32_e32 v51, v43
	global_load_b64 v[6:7], v[6:7], off offset:9392
	v_add_co_u32 v8, s1, s8, v8
	s_wait_alu 0xf1ff
	v_add_co_ci_u32_e64 v9, s1, s9, v9, s1
	v_lshlrev_b64_e32 v[10:11], 3, v[50:51]
	v_mov_b32_e32 v50, v43
	global_load_b64 v[8:9], v[8:9], off offset:9392
	v_add_co_u32 v10, s1, s8, v10
	s_wait_alu 0xf1ff
	v_add_co_ci_u32_e64 v11, s1, s9, v11, s1
	;; [unrolled: 6-line block ×3, first 2 shown]
	v_lshlrev_b64_e32 v[14:15], 3, v[48:49]
	global_load_b64 v[12:13], v[12:13], off offset:9392
	v_add_co_u32 v14, s1, s8, v14
	s_wait_alu 0xf1ff
	v_add_co_ci_u32_e64 v15, s1, s9, v15, s1
	global_load_b64 v[14:15], v[14:15], off offset:9392
	ds_load_b64 v[0:1], v68
	ds_load_b64 v[18:19], v4 offset:8960
	s_wait_dscnt 0x0
	v_add_f32_e32 v20, v1, v19
	v_dual_mov_b32 v48, v43 :: v_dual_sub_f32 v5, v0, v18
	v_dual_sub_f32 v1, v1, v19 :: v_dual_add_f32 v18, v0, v18
	s_delay_alu instid0(VALU_DEP_3) | instskip(NEXT) | instid1(VALU_DEP_3)
	v_mul_f32_e32 v20, 0.5, v20
	v_lshlrev_b64_e32 v[16:17], 3, v[47:48]
	s_delay_alu instid0(VALU_DEP_4) | instskip(NEXT) | instid1(VALU_DEP_4)
	v_mul_f32_e32 v5, 0.5, v5
	v_mul_f32_e32 v1, 0.5, v1
	v_mov_b32_e32 v47, v43
	s_delay_alu instid0(VALU_DEP_4)
	v_add_co_u32 v16, s1, s8, v16
	s_wait_alu 0xf1ff
	v_add_co_ci_u32_e64 v17, s1, s9, v17, s1
	global_load_b64 v[16:17], v[16:17], off offset:9392
	s_wait_loadcnt 0x6
	v_mul_f32_e32 v19, v3, v5
	s_delay_alu instid0(VALU_DEP_1)
	v_fma_f32 v0, 0.5, v18, v19
	v_fma_f32 v22, v18, 0.5, -v19
	v_lshlrev_b64_e32 v[18:19], 3, v[46:47]
	v_mov_b32_e32 v46, v43
	v_fma_f32 v21, v20, v3, v1
	v_fma_f32 v3, v20, v3, -v1
	v_fmac_f32_e32 v0, v2, v20
	v_add_co_u32 v18, s1, s8, v18
	s_delay_alu instid0(VALU_DEP_4) | instskip(NEXT) | instid1(VALU_DEP_4)
	v_fma_f32 v1, -v2, v5, v21
	v_fma_f32 v3, -v2, v5, v3
	;; [unrolled: 1-line block ×3, first 2 shown]
	ds_store_b64 v68, v[0:1]
	ds_store_b64 v4, v[2:3] offset:8960
	ds_load_b64 v[0:1], v67
	ds_load_b64 v[2:3], v4 offset:8512
	s_wait_alu 0xf1ff
	v_add_co_ci_u32_e64 v19, s1, s9, v19, s1
	global_load_b64 v[18:19], v[18:19], off offset:9392
	s_wait_dscnt 0x0
	v_dual_add_f32 v20, v1, v3 :: v_dual_add_f32 v21, v0, v2
	s_delay_alu instid0(VALU_DEP_1) | instskip(NEXT) | instid1(VALU_DEP_1)
	v_dual_mul_f32 v20, 0.5, v20 :: v_dual_sub_f32 v5, v0, v2
	v_mul_f32_e32 v5, 0.5, v5
	s_wait_loadcnt 0x6
	s_delay_alu instid0(VALU_DEP_1) | instskip(NEXT) | instid1(VALU_DEP_1)
	v_dual_sub_f32 v1, v1, v3 :: v_dual_mul_f32 v22, v7, v5
	v_mul_f32_e32 v3, 0.5, v1
	v_lshlrev_b64_e32 v[0:1], 3, v[45:46]
	s_delay_alu instid0(VALU_DEP_3) | instskip(NEXT) | instid1(VALU_DEP_3)
	v_fma_f32 v2, 0.5, v21, v22
	v_fma_f32 v23, v20, v7, v3
	v_fma_f32 v7, v20, v7, -v3
	v_fma_f32 v21, v21, 0.5, -v22
	v_add_co_u32 v0, s1, s8, v0
	s_wait_alu 0xf1ff
	v_add_co_ci_u32_e64 v1, s1, s9, v1, s1
	v_fma_f32 v3, -v6, v5, v23
	v_fmac_f32_e32 v2, v6, v20
	v_fma_f32 v7, -v6, v5, v7
	v_fma_f32 v6, -v6, v20, v21
	global_load_b64 v[0:1], v[0:1], off offset:9392
	ds_store_b64 v67, v[2:3]
	ds_store_b64 v4, v[6:7] offset:8512
	ds_load_b64 v[2:3], v66
	ds_load_b64 v[5:6], v4 offset:8064
	s_wait_dscnt 0x0
	v_dual_sub_f32 v7, v2, v5 :: v_dual_add_f32 v20, v3, v6
	v_sub_f32_e32 v3, v3, v6
	s_delay_alu instid0(VALU_DEP_2) | instskip(SKIP_1) | instid1(VALU_DEP_1)
	v_dual_add_f32 v5, v2, v5 :: v_dual_mul_f32 v6, 0.5, v7
	s_wait_loadcnt 0x6
	v_dual_mul_f32 v7, 0.5, v20 :: v_dual_mul_f32 v20, v9, v6
	s_delay_alu instid0(VALU_DEP_1) | instskip(SKIP_1) | instid1(VALU_DEP_2)
	v_fma_f32 v2, 0.5, v5, v20
	v_fma_f32 v5, v5, 0.5, -v20
	v_fmac_f32_e32 v2, v8, v7
	v_mul_f32_e32 v3, 0.5, v3
	s_delay_alu instid0(VALU_DEP_3) | instskip(NEXT) | instid1(VALU_DEP_2)
	v_fma_f32 v5, -v8, v7, v5
	v_fma_f32 v21, v7, v9, v3
	v_fma_f32 v9, v7, v9, -v3
	s_delay_alu instid0(VALU_DEP_2) | instskip(NEXT) | instid1(VALU_DEP_2)
	v_fma_f32 v3, -v8, v6, v21
	v_fma_f32 v6, -v8, v6, v9
	ds_store_b64 v66, v[2:3]
	ds_store_b64 v4, v[5:6] offset:8064
	ds_load_b64 v[2:3], v65
	ds_load_b64 v[5:6], v4 offset:7616
	s_wait_dscnt 0x0
	v_dual_sub_f32 v7, v2, v5 :: v_dual_add_f32 v8, v3, v6
	v_sub_f32_e32 v3, v3, v6
	s_delay_alu instid0(VALU_DEP_2) | instskip(SKIP_1) | instid1(VALU_DEP_1)
	v_dual_add_f32 v5, v2, v5 :: v_dual_mul_f32 v6, 0.5, v7
	s_wait_loadcnt 0x5
	v_dual_mul_f32 v7, 0.5, v8 :: v_dual_mul_f32 v8, v11, v6
	s_delay_alu instid0(VALU_DEP_1) | instskip(SKIP_1) | instid1(VALU_DEP_2)
	v_fma_f32 v2, 0.5, v5, v8
	v_fma_f32 v5, v5, 0.5, -v8
	v_fmac_f32_e32 v2, v10, v7
	v_mul_f32_e32 v3, 0.5, v3
	s_delay_alu instid0(VALU_DEP_3) | instskip(NEXT) | instid1(VALU_DEP_2)
	v_fma_f32 v5, -v10, v7, v5
	v_fma_f32 v9, v7, v11, v3
	v_fma_f32 v11, v7, v11, -v3
	s_delay_alu instid0(VALU_DEP_2) | instskip(NEXT) | instid1(VALU_DEP_2)
	v_fma_f32 v3, -v10, v6, v9
	v_fma_f32 v6, -v10, v6, v11
	;; [unrolled: 23-line block ×6, first 2 shown]
	ds_store_b64 v70, v[2:3]
	ds_store_b64 v4, v[5:6] offset:5824
	ds_load_b64 v[2:3], v69
	ds_load_b64 v[5:6], v4 offset:5376
	s_wait_dscnt 0x0
	v_dual_sub_f32 v7, v2, v5 :: v_dual_add_f32 v8, v3, v6
	v_dual_sub_f32 v3, v3, v6 :: v_dual_add_f32 v2, v2, v5
	s_delay_alu instid0(VALU_DEP_2) | instskip(NEXT) | instid1(VALU_DEP_2)
	v_dual_mul_f32 v6, 0.5, v7 :: v_dual_mul_f32 v7, 0.5, v8
	v_mul_f32_e32 v3, 0.5, v3
	s_wait_loadcnt 0x0
	s_delay_alu instid0(VALU_DEP_2) | instskip(NEXT) | instid1(VALU_DEP_2)
	v_mul_f32_e32 v5, v1, v6
	v_fma_f32 v8, v7, v1, v3
	v_fma_f32 v3, v7, v1, -v3
	s_delay_alu instid0(VALU_DEP_3) | instskip(SKIP_1) | instid1(VALU_DEP_4)
	v_fma_f32 v1, 0.5, v2, v5
	v_fma_f32 v5, v2, 0.5, -v5
	v_fma_f32 v2, -v0, v6, v8
	s_delay_alu instid0(VALU_DEP_4) | instskip(NEXT) | instid1(VALU_DEP_4)
	v_fma_f32 v6, -v0, v6, v3
	v_fmac_f32_e32 v1, v0, v7
	s_delay_alu instid0(VALU_DEP_4)
	v_fma_f32 v5, -v0, v7, v5
	ds_store_b64 v69, v[1:2]
	ds_store_b64 v4, v[5:6] offset:5376
	s_and_saveexec_b32 s1, s0
	s_cbranch_execz .LBB0_29
; %bb.28:
	v_mov_b32_e32 v45, v43
	s_delay_alu instid0(VALU_DEP_1) | instskip(NEXT) | instid1(VALU_DEP_1)
	v_lshlrev_b64_e32 v[0:1], 3, v[44:45]
	v_add_co_u32 v0, s0, s8, v0
	s_wait_alu 0xf1ff
	s_delay_alu instid0(VALU_DEP_2)
	v_add_co_ci_u32_e64 v1, s0, s9, v1, s0
	global_load_b64 v[0:1], v[0:1], off offset:9392
	ds_load_b64 v[2:3], v63
	ds_load_b64 v[5:6], v4 offset:4928
	s_wait_dscnt 0x0
	v_dual_sub_f32 v7, v2, v5 :: v_dual_add_f32 v8, v3, v6
	v_dual_sub_f32 v3, v3, v6 :: v_dual_add_f32 v2, v2, v5
	s_delay_alu instid0(VALU_DEP_2) | instskip(NEXT) | instid1(VALU_DEP_2)
	v_dual_mul_f32 v6, 0.5, v7 :: v_dual_mul_f32 v7, 0.5, v8
	v_mul_f32_e32 v3, 0.5, v3
	s_wait_loadcnt 0x0
	s_delay_alu instid0(VALU_DEP_2) | instskip(NEXT) | instid1(VALU_DEP_2)
	v_mul_f32_e32 v5, v1, v6
	v_fma_f32 v8, v7, v1, v3
	v_fma_f32 v3, v7, v1, -v3
	s_delay_alu instid0(VALU_DEP_3) | instskip(SKIP_1) | instid1(VALU_DEP_4)
	v_fma_f32 v1, 0.5, v2, v5
	v_fma_f32 v5, v2, 0.5, -v5
	v_fma_f32 v2, -v0, v6, v8
	s_delay_alu instid0(VALU_DEP_4) | instskip(NEXT) | instid1(VALU_DEP_4)
	v_fma_f32 v6, -v0, v6, v3
	v_fmac_f32_e32 v1, v0, v7
	s_delay_alu instid0(VALU_DEP_4)
	v_fma_f32 v5, -v0, v7, v5
	ds_store_b64 v63, v[1:2]
	ds_store_b64 v4, v[5:6] offset:4928
.LBB0_29:
	s_wait_alu 0xfffe
	s_or_b32 exec_lo, exec_lo, s1
	global_wb scope:SCOPE_SE
	s_wait_dscnt 0x0
	s_barrier_signal -1
	s_barrier_wait -1
	global_inv scope:SCOPE_SE
	s_and_saveexec_b32 s0, vcc_lo
	s_cbranch_execz .LBB0_32
; %bb.30:
	v_mul_lo_u32 v2, s3, v40
	v_mul_lo_u32 v3, s2, v41
	v_mad_co_u64_u32 v[0:1], null, s2, v40, 0
	v_dual_mov_b32 v39, 0 :: v_dual_add_nc_u32 v12, 56, v38
	v_lshlrev_b64_e32 v[10:11], 3, v[36:37]
	v_lshl_add_u32 v20, v38, 3, 0
	s_delay_alu instid0(VALU_DEP_3)
	v_dual_mov_b32 v13, v39 :: v_dual_add_nc_u32 v14, 0x70, v38
	v_add3_u32 v1, v1, v3, v2
	v_lshlrev_b64_e32 v[16:17], 3, v[38:39]
	v_mov_b32_e32 v15, v39
	ds_load_2addr_b64 v[2:5], v20 offset1:56
	ds_load_2addr_b64 v[6:9], v20 offset0:112 offset1:168
	v_lshlrev_b64_e32 v[0:1], 3, v[0:1]
	v_lshlrev_b64_e32 v[12:13], 3, v[12:13]
	v_mov_b32_e32 v19, v39
	v_add_nc_u32_e32 v21, 0x400, v20
	v_add_nc_u32_e32 v18, 0xe0, v38
	v_add_co_u32 v0, vcc_lo, s6, v0
	s_wait_alu 0xfffd
	v_add_co_ci_u32_e32 v1, vcc_lo, s7, v1, vcc_lo
	s_delay_alu instid0(VALU_DEP_2) | instskip(SKIP_1) | instid1(VALU_DEP_2)
	v_add_co_u32 v0, vcc_lo, v0, v10
	s_wait_alu 0xfffd
	v_add_co_ci_u32_e32 v1, vcc_lo, v1, v11, vcc_lo
	v_lshlrev_b64_e32 v[10:11], 3, v[14:15]
	s_delay_alu instid0(VALU_DEP_3) | instskip(SKIP_1) | instid1(VALU_DEP_3)
	v_add_co_u32 v14, vcc_lo, v0, v16
	s_wait_alu 0xfffd
	v_add_co_ci_u32_e32 v15, vcc_lo, v1, v17, vcc_lo
	v_dual_mov_b32 v17, v39 :: v_dual_add_nc_u32 v16, 0xa8, v38
	v_add_co_u32 v12, vcc_lo, v0, v12
	s_wait_alu 0xfffd
	v_add_co_ci_u32_e32 v13, vcc_lo, v1, v13, vcc_lo
	s_delay_alu instid0(VALU_DEP_3) | instskip(SKIP_3) | instid1(VALU_DEP_3)
	v_lshlrev_b64_e32 v[16:17], 3, v[16:17]
	v_add_co_u32 v10, vcc_lo, v0, v10
	s_wait_alu 0xfffd
	v_add_co_ci_u32_e32 v11, vcc_lo, v1, v11, vcc_lo
	v_add_co_u32 v16, vcc_lo, v0, v16
	s_wait_alu 0xfffd
	v_add_co_ci_u32_e32 v17, vcc_lo, v1, v17, vcc_lo
	s_wait_dscnt 0x1
	s_clause 0x1
	global_store_b64 v[14:15], v[2:3], off
	global_store_b64 v[12:13], v[4:5], off
	s_wait_dscnt 0x0
	s_clause 0x1
	global_store_b64 v[10:11], v[6:7], off
	global_store_b64 v[16:17], v[8:9], off
	v_add_nc_u32_e32 v8, 0x118, v38
	v_lshlrev_b64_e32 v[6:7], 3, v[18:19]
	ds_load_2addr_b64 v[2:5], v21 offset0:96 offset1:152
	v_dual_mov_b32 v9, v39 :: v_dual_add_nc_u32 v10, 0x150, v38
	v_add_nc_u32_e32 v21, 0x800, v20
	v_dual_mov_b32 v11, v39 :: v_dual_add_nc_u32 v16, 0x188, v38
	v_add_co_u32 v12, vcc_lo, v0, v6
	s_wait_alu 0xfffd
	v_add_co_ci_u32_e32 v13, vcc_lo, v1, v7, vcc_lo
	v_lshlrev_b64_e32 v[14:15], 3, v[8:9]
	ds_load_2addr_b64 v[6:9], v21 offset0:80 offset1:136
	v_dual_mov_b32 v17, v39 :: v_dual_add_nc_u32 v18, 0x1c0, v38
	v_lshlrev_b64_e32 v[10:11], 3, v[10:11]
	v_add_co_u32 v14, vcc_lo, v0, v14
	s_delay_alu instid0(VALU_DEP_3) | instskip(SKIP_2) | instid1(VALU_DEP_4)
	v_lshlrev_b64_e32 v[16:17], 3, v[16:17]
	s_wait_alu 0xfffd
	v_add_co_ci_u32_e32 v15, vcc_lo, v1, v15, vcc_lo
	v_add_co_u32 v10, vcc_lo, v0, v10
	s_wait_alu 0xfffd
	v_add_co_ci_u32_e32 v11, vcc_lo, v1, v11, vcc_lo
	v_add_co_u32 v16, vcc_lo, v0, v16
	s_wait_alu 0xfffd
	v_add_co_ci_u32_e32 v17, vcc_lo, v1, v17, vcc_lo
	s_wait_dscnt 0x1
	s_clause 0x1
	global_store_b64 v[12:13], v[2:3], off
	global_store_b64 v[14:15], v[4:5], off
	s_wait_dscnt 0x0
	s_clause 0x1
	global_store_b64 v[10:11], v[6:7], off
	global_store_b64 v[16:17], v[8:9], off
	v_lshlrev_b64_e32 v[6:7], 3, v[18:19]
	ds_load_2addr_b64 v[2:5], v21 offset0:192 offset1:248
	v_dual_mov_b32 v9, v39 :: v_dual_add_nc_u32 v8, 0x1f8, v38
	v_add_nc_u32_e32 v21, 0x1000, v20
	v_dual_mov_b32 v11, v39 :: v_dual_add_nc_u32 v10, 0x230, v38
	v_add_co_u32 v12, vcc_lo, v0, v6
	s_wait_alu 0xfffd
	v_add_co_ci_u32_e32 v13, vcc_lo, v1, v7, vcc_lo
	v_lshlrev_b64_e32 v[14:15], 3, v[8:9]
	ds_load_2addr_b64 v[6:9], v21 offset0:48 offset1:104
	v_dual_mov_b32 v17, v39 :: v_dual_add_nc_u32 v16, 0x268, v38
	v_lshlrev_b64_e32 v[10:11], 3, v[10:11]
	v_add_nc_u32_e32 v18, 0x2a0, v38
	v_add_co_u32 v14, vcc_lo, v0, v14
	s_delay_alu instid0(VALU_DEP_4)
	v_lshlrev_b64_e32 v[16:17], 3, v[16:17]
	s_wait_alu 0xfffd
	v_add_co_ci_u32_e32 v15, vcc_lo, v1, v15, vcc_lo
	v_add_co_u32 v10, vcc_lo, v0, v10
	s_wait_alu 0xfffd
	v_add_co_ci_u32_e32 v11, vcc_lo, v1, v11, vcc_lo
	v_add_co_u32 v16, vcc_lo, v0, v16
	s_wait_alu 0xfffd
	v_add_co_ci_u32_e32 v17, vcc_lo, v1, v17, vcc_lo
	s_wait_dscnt 0x1
	s_clause 0x1
	global_store_b64 v[12:13], v[2:3], off
	global_store_b64 v[14:15], v[4:5], off
	s_wait_dscnt 0x0
	s_clause 0x1
	global_store_b64 v[10:11], v[6:7], off
	global_store_b64 v[16:17], v[8:9], off
	v_mov_b32_e32 v9, v39
	v_lshlrev_b64_e32 v[6:7], 3, v[18:19]
	ds_load_2addr_b64 v[2:5], v21 offset0:160 offset1:216
	v_dual_mov_b32 v11, v39 :: v_dual_add_nc_u32 v8, 0x2d8, v38
	v_add_nc_u32_e32 v21, 0x1800, v20
	v_dual_mov_b32 v17, v39 :: v_dual_add_nc_u32 v10, 0x310, v38
	v_add_co_u32 v12, vcc_lo, v0, v6
	s_wait_alu 0xfffd
	v_add_co_ci_u32_e32 v13, vcc_lo, v1, v7, vcc_lo
	v_lshlrev_b64_e32 v[14:15], 3, v[8:9]
	ds_load_2addr_b64 v[6:9], v21 offset0:16 offset1:72
	v_add_nc_u32_e32 v16, 0x348, v38
	v_lshlrev_b64_e32 v[10:11], 3, v[10:11]
	v_add_nc_u32_e32 v18, 0x380, v38
	v_add_co_u32 v14, vcc_lo, v0, v14
	s_delay_alu instid0(VALU_DEP_4)
	v_lshlrev_b64_e32 v[16:17], 3, v[16:17]
	s_wait_alu 0xfffd
	v_add_co_ci_u32_e32 v15, vcc_lo, v1, v15, vcc_lo
	v_add_co_u32 v10, vcc_lo, v0, v10
	s_wait_alu 0xfffd
	v_add_co_ci_u32_e32 v11, vcc_lo, v1, v11, vcc_lo
	v_add_co_u32 v16, vcc_lo, v0, v16
	s_wait_alu 0xfffd
	v_add_co_ci_u32_e32 v17, vcc_lo, v1, v17, vcc_lo
	s_wait_dscnt 0x1
	s_clause 0x1
	global_store_b64 v[12:13], v[2:3], off
	global_store_b64 v[14:15], v[4:5], off
	s_wait_dscnt 0x0
	s_clause 0x1
	global_store_b64 v[10:11], v[6:7], off
	global_store_b64 v[16:17], v[8:9], off
	v_dual_mov_b32 v13, v39 :: v_dual_add_nc_u32 v6, 0x3b8, v38
	v_mov_b32_e32 v15, v39
	v_mov_b32_e32 v7, v39
	v_lshlrev_b64_e32 v[18:19], 3, v[18:19]
	v_add_nc_u32_e32 v12, 0x3f0, v38
	v_add_nc_u32_e32 v8, 0x1c00, v20
	;; [unrolled: 1-line block ×3, first 2 shown]
	v_lshlrev_b64_e32 v[6:7], 3, v[6:7]
	ds_load_2addr_b64 v[2:5], v21 offset0:128 offset1:184
	v_add_co_u32 v10, vcc_lo, v0, v18
	s_wait_alu 0xfffd
	v_add_co_ci_u32_e32 v11, vcc_lo, v1, v19, vcc_lo
	v_mov_b32_e32 v19, v39
	v_add_co_u32 v16, vcc_lo, v0, v6
	v_lshlrev_b64_e32 v[12:13], 3, v[12:13]
	v_add_nc_u32_e32 v18, 0x460, v38
	s_wait_alu 0xfffd
	v_add_co_ci_u32_e32 v17, vcc_lo, v1, v7, vcc_lo
	ds_load_2addr_b64 v[6:9], v8 offset0:112 offset1:168
	v_lshlrev_b64_e32 v[14:15], 3, v[14:15]
	ds_load_b64 v[20:21], v20 offset:8960
	v_add_co_u32 v12, vcc_lo, v0, v12
	v_lshlrev_b64_e32 v[18:19], 3, v[18:19]
	s_wait_alu 0xfffd
	v_add_co_ci_u32_e32 v13, vcc_lo, v1, v13, vcc_lo
	v_add_co_u32 v14, vcc_lo, v0, v14
	s_wait_alu 0xfffd
	v_add_co_ci_u32_e32 v15, vcc_lo, v1, v15, vcc_lo
	v_add_co_u32 v18, vcc_lo, v0, v18
	s_wait_alu 0xfffd
	v_add_co_ci_u32_e32 v19, vcc_lo, v1, v19, vcc_lo
	v_cmp_eq_u32_e32 vcc_lo, 55, v38
	s_wait_dscnt 0x2
	s_clause 0x1
	global_store_b64 v[10:11], v[2:3], off
	global_store_b64 v[16:17], v[4:5], off
	s_wait_dscnt 0x1
	s_clause 0x1
	global_store_b64 v[12:13], v[6:7], off
	global_store_b64 v[14:15], v[8:9], off
	s_wait_dscnt 0x0
	global_store_b64 v[18:19], v[20:21], off
	s_and_b32 exec_lo, exec_lo, vcc_lo
	s_cbranch_execz .LBB0_32
; %bb.31:
	ds_load_b64 v[2:3], v39 offset:9408
	s_wait_dscnt 0x0
	global_store_b64 v[0:1], v[2:3], off offset:9408
.LBB0_32:
	s_nop 0
	s_sendmsg sendmsg(MSG_DEALLOC_VGPRS)
	s_endpgm
	.section	.rodata,"a",@progbits
	.p2align	6, 0x0
	.amdhsa_kernel fft_rtc_back_len1176_factors_2_2_2_3_7_7_wgs_56_tpt_56_halfLds_sp_op_CI_CI_unitstride_sbrr_R2C_dirReg
		.amdhsa_group_segment_fixed_size 0
		.amdhsa_private_segment_fixed_size 0
		.amdhsa_kernarg_size 104
		.amdhsa_user_sgpr_count 2
		.amdhsa_user_sgpr_dispatch_ptr 0
		.amdhsa_user_sgpr_queue_ptr 0
		.amdhsa_user_sgpr_kernarg_segment_ptr 1
		.amdhsa_user_sgpr_dispatch_id 0
		.amdhsa_user_sgpr_private_segment_size 0
		.amdhsa_wavefront_size32 1
		.amdhsa_uses_dynamic_stack 0
		.amdhsa_enable_private_segment 0
		.amdhsa_system_sgpr_workgroup_id_x 1
		.amdhsa_system_sgpr_workgroup_id_y 0
		.amdhsa_system_sgpr_workgroup_id_z 0
		.amdhsa_system_sgpr_workgroup_info 0
		.amdhsa_system_vgpr_workitem_id 0
		.amdhsa_next_free_vgpr 130
		.amdhsa_next_free_sgpr 39
		.amdhsa_reserve_vcc 1
		.amdhsa_float_round_mode_32 0
		.amdhsa_float_round_mode_16_64 0
		.amdhsa_float_denorm_mode_32 3
		.amdhsa_float_denorm_mode_16_64 3
		.amdhsa_fp16_overflow 0
		.amdhsa_workgroup_processor_mode 1
		.amdhsa_memory_ordered 1
		.amdhsa_forward_progress 0
		.amdhsa_round_robin_scheduling 0
		.amdhsa_exception_fp_ieee_invalid_op 0
		.amdhsa_exception_fp_denorm_src 0
		.amdhsa_exception_fp_ieee_div_zero 0
		.amdhsa_exception_fp_ieee_overflow 0
		.amdhsa_exception_fp_ieee_underflow 0
		.amdhsa_exception_fp_ieee_inexact 0
		.amdhsa_exception_int_div_zero 0
	.end_amdhsa_kernel
	.text
.Lfunc_end0:
	.size	fft_rtc_back_len1176_factors_2_2_2_3_7_7_wgs_56_tpt_56_halfLds_sp_op_CI_CI_unitstride_sbrr_R2C_dirReg, .Lfunc_end0-fft_rtc_back_len1176_factors_2_2_2_3_7_7_wgs_56_tpt_56_halfLds_sp_op_CI_CI_unitstride_sbrr_R2C_dirReg
                                        ; -- End function
	.section	.AMDGPU.csdata,"",@progbits
; Kernel info:
; codeLenInByte = 14820
; NumSgprs: 41
; NumVgprs: 130
; ScratchSize: 0
; MemoryBound: 0
; FloatMode: 240
; IeeeMode: 1
; LDSByteSize: 0 bytes/workgroup (compile time only)
; SGPRBlocks: 5
; VGPRBlocks: 16
; NumSGPRsForWavesPerEU: 41
; NumVGPRsForWavesPerEU: 130
; Occupancy: 10
; WaveLimiterHint : 1
; COMPUTE_PGM_RSRC2:SCRATCH_EN: 0
; COMPUTE_PGM_RSRC2:USER_SGPR: 2
; COMPUTE_PGM_RSRC2:TRAP_HANDLER: 0
; COMPUTE_PGM_RSRC2:TGID_X_EN: 1
; COMPUTE_PGM_RSRC2:TGID_Y_EN: 0
; COMPUTE_PGM_RSRC2:TGID_Z_EN: 0
; COMPUTE_PGM_RSRC2:TIDIG_COMP_CNT: 0
	.text
	.p2alignl 7, 3214868480
	.fill 96, 4, 3214868480
	.type	__hip_cuid_71fa11ef0d082820,@object ; @__hip_cuid_71fa11ef0d082820
	.section	.bss,"aw",@nobits
	.globl	__hip_cuid_71fa11ef0d082820
__hip_cuid_71fa11ef0d082820:
	.byte	0                               ; 0x0
	.size	__hip_cuid_71fa11ef0d082820, 1

	.ident	"AMD clang version 19.0.0git (https://github.com/RadeonOpenCompute/llvm-project roc-6.4.0 25133 c7fe45cf4b819c5991fe208aaa96edf142730f1d)"
	.section	".note.GNU-stack","",@progbits
	.addrsig
	.addrsig_sym __hip_cuid_71fa11ef0d082820
	.amdgpu_metadata
---
amdhsa.kernels:
  - .args:
      - .actual_access:  read_only
        .address_space:  global
        .offset:         0
        .size:           8
        .value_kind:     global_buffer
      - .offset:         8
        .size:           8
        .value_kind:     by_value
      - .actual_access:  read_only
        .address_space:  global
        .offset:         16
        .size:           8
        .value_kind:     global_buffer
      - .actual_access:  read_only
        .address_space:  global
        .offset:         24
        .size:           8
        .value_kind:     global_buffer
      - .actual_access:  read_only
        .address_space:  global
        .offset:         32
        .size:           8
        .value_kind:     global_buffer
      - .offset:         40
        .size:           8
        .value_kind:     by_value
      - .actual_access:  read_only
        .address_space:  global
        .offset:         48
        .size:           8
        .value_kind:     global_buffer
      - .actual_access:  read_only
        .address_space:  global
        .offset:         56
        .size:           8
        .value_kind:     global_buffer
      - .offset:         64
        .size:           4
        .value_kind:     by_value
      - .actual_access:  read_only
        .address_space:  global
        .offset:         72
        .size:           8
        .value_kind:     global_buffer
      - .actual_access:  read_only
        .address_space:  global
        .offset:         80
        .size:           8
        .value_kind:     global_buffer
      - .actual_access:  read_only
        .address_space:  global
        .offset:         88
        .size:           8
        .value_kind:     global_buffer
      - .actual_access:  write_only
        .address_space:  global
        .offset:         96
        .size:           8
        .value_kind:     global_buffer
    .group_segment_fixed_size: 0
    .kernarg_segment_align: 8
    .kernarg_segment_size: 104
    .language:       OpenCL C
    .language_version:
      - 2
      - 0
    .max_flat_workgroup_size: 56
    .name:           fft_rtc_back_len1176_factors_2_2_2_3_7_7_wgs_56_tpt_56_halfLds_sp_op_CI_CI_unitstride_sbrr_R2C_dirReg
    .private_segment_fixed_size: 0
    .sgpr_count:     41
    .sgpr_spill_count: 0
    .symbol:         fft_rtc_back_len1176_factors_2_2_2_3_7_7_wgs_56_tpt_56_halfLds_sp_op_CI_CI_unitstride_sbrr_R2C_dirReg.kd
    .uniform_work_group_size: 1
    .uses_dynamic_stack: false
    .vgpr_count:     130
    .vgpr_spill_count: 0
    .wavefront_size: 32
    .workgroup_processor_mode: 1
amdhsa.target:   amdgcn-amd-amdhsa--gfx1201
amdhsa.version:
  - 1
  - 2
...

	.end_amdgpu_metadata
